;; amdgpu-corpus repo=ROCm/aiter kind=harvested arch=n/a opt=n/a

/root/src/amdgpu-assembly/repos/ROCm__aiter/hsa/gfx950/fmoe_2stages/fmoe_stage1_bf16_pertokenFp8_g1u1_112x128_pf2.co:	file format elf64-amdgpu

Disassembly of section .text:

0000000000002a00 <_ZN5aiter45fmoe_stage1_bf16_pertokenFp8_g1u1_112x128_pf2E>:
	s_and_b32 s1, s1, 0xffff                                   // 000000002A00: 8601FF01 0000FFFF
	s_load_dwordx2 s[8:9], s[0:1], 0x0                         // 000000002A08: C0060200 00000000
	s_load_dwordx2 s[20:21], s[0:1], 0x10                      // 000000002A10: C0060500 00000010
	s_load_dwordx2 s[24:25], s[0:1], 0x20                      // 000000002A18: C0060600 00000020
	s_load_dwordx2 s[48:49], s[0:1], 0x30                      // 000000002A20: C0060C00 00000030
	s_load_dwordx2 s[28:29], s[0:1], 0x40                      // 000000002A28: C0060700 00000040
	s_load_dwordx2 s[32:33], s[0:1], 0x50                      // 000000002A30: C0060800 00000050
	s_load_dwordx2 s[36:37], s[0:1], 0x60                      // 000000002A38: C0060900 00000060
	s_load_dwordx2 s[12:13], s[0:1], 0x70                      // 000000002A40: C0060300 00000070
	s_load_dwordx2 s[44:45], s[0:1], 0x80                      // 000000002A48: C0060B00 00000080
	s_mov_b32 s89, 0                                           // 000000002A50: BED90080
	s_load_dword s64, s[0:1], 0x90                             // 000000002A54: C0021000 00000090
	s_load_dword s65, s[0:1], 0xa0                             // 000000002A5C: C0021040 000000A0
	s_load_dword s66, s[0:1], 0xb0                             // 000000002A64: C0021080 000000B0
	s_load_dword s67, s[0:1], 0xc0                             // 000000002A6C: C00210C0 000000C0
	s_load_dword s68, s[0:1], 0xd0                             // 000000002A74: C0021100 000000D0
	s_load_dword s69, s[0:1], 0xe0                             // 000000002A7C: C0021140 000000E0
	s_load_dword s71, s[0:1], 0xf0                             // 000000002A84: C00211C0 000000F0
	s_load_dword s72, s[0:1], 0x100                            // 000000002A8C: C0021200 00000100
	s_load_dword s74, s[0:1], 0x110                            // 000000002A94: C0021280 00000110
	s_load_dword s76, s[0:1], 0x120                            // 000000002A9C: C0021300 00000120
	s_load_dword s56, s[0:1], 0x130                            // 000000002AA4: C0020E00 00000130
	s_load_dword s88, s[0:1], 0x140                            // 000000002AAC: C0021600 00000140
	s_load_dword s89, s[0:1], 0x150                            // 000000002AB4: C0021640 00000150
	v_lshrrev_b32_e32 v1, 10, v0                               // 000000002ABC: 2002008A
	v_lshrrev_b32_e32 v2, 10, v1                               // 000000002AC0: 2004028A
	v_and_b32_e32 v2, 0x3ff, v2                                // 000000002AC4: 260404FF 000003FF
	v_and_b32_e32 v1, 0x3ff, v1                                // 000000002ACC: 260202FF 000003FF
	v_and_b32_e32 v0, 0x3ff, v0                                // 000000002AD4: 260000FF 000003FF
	v_lshrrev_b32_e32 v3, 6, v0                                // 000000002ADC: 20060086
	v_and_b32_e32 v0, 63, v0                                   // 000000002AE0: 260000BF
	s_mov_b32 s2, s2                                           // 000000002AE4: BE820002
	s_mov_b32 s3, s3                                           // 000000002AE8: BE830003
	s_mov_b32 s4, s4                                           // 000000002AEC: BE840004
	v_readfirstlane_b32 s7, v3                                 // 000000002AF0: 7E0E0503
	s_waitcnt lgkmcnt(0)                                       // 000000002AF4: BF8CC07F
	s_and_b32 s49, s49, 0xffff                                 // 000000002AF8: 8631FF31 0000FFFF
	s_load_dword s48, s[48:49], 0x0                            // 000000002B00: C0020C18 00000000
	s_and_b32 s45, s45, 0xffff                                 // 000000002B08: 862DFF2D 0000FFFF
	s_and_b32 s9, s9, 0xffff                                   // 000000002B10: 8609FF09 0000FFFF
	s_mul_i32 s60, s66, s68                                    // 000000002B18: 923C4442
	s_mul_i32 s61, s66, 4                                      // 000000002B1C: 923D8442
	s_mov_b32 s22, s60                                         // 000000002B20: BE96003C
	s_mov_b32 s26, -16                                         // 000000002B24: BE9A00D0
	s_mov_b32 s30, s61                                         // 000000002B28: BE9E003D
	s_mov_b32 s14, 0x1c0                                       // 000000002B2C: BE8E00FF 000001C0
	s_mov_b32 s38, -16                                         // 000000002B34: BEA600D0
	s_mov_b32 s10, -16                                         // 000000002B38: BE8A00D0
	s_mov_b32 s34, 0x200                                       // 000000002B3C: BEA200FF 00000200
	s_mov_b32 s23, 0x20000                                     // 000000002B44: BE9700FF 00020000
	s_mov_b32 s27, 0x20000                                     // 000000002B4C: BE9B00FF 00020000
	s_mov_b32 s31, 0x20000                                     // 000000002B54: BE9F00FF 00020000
	s_mov_b32 s35, 0x20000                                     // 000000002B5C: BEA300FF 00020000
	s_mov_b32 s15, 0x20000                                     // 000000002B64: BE8F00FF 00020000
	s_mov_b32 s39, 0x20000                                     // 000000002B6C: BEA700FF 00020000
	s_mov_b32 s11, 0x20000                                     // 000000002B74: BE8B00FF 00020000
	s_and_b32 s21, s21, 0xffff                                 // 000000002B7C: 8615FF15 0000FFFF
	s_and_b32 s25, s25, 0xffff                                 // 000000002B84: 8619FF19 0000FFFF
	s_and_b32 s29, s29, 0xffff                                 // 000000002B8C: 861DFF1D 0000FFFF
	s_and_b32 s33, s33, 0xffff                                 // 000000002B94: 8621FF21 0000FFFF
	s_and_b32 s13, s13, 0xffff                                 // 000000002B9C: 860DFF0D 0000FFFF
	s_and_b32 s37, s37, 0xffff                                 // 000000002BA4: 8625FF25 0000FFFF
	s_or_b32 s21, s21, 0x40000                                 // 000000002BAC: 8715FF15 00040000
	s_or_b32 s25, s25, 0x40000                                 // 000000002BB4: 8719FF19 00040000
	s_or_b32 s29, s29, 0x40000                                 // 000000002BBC: 871DFF1D 00040000
	s_or_b32 s33, s33, 0x40000                                 // 000000002BC4: 8721FF21 00040000
	s_or_b32 s13, s13, 0x40000                                 // 000000002BCC: 870DFF0D 00040000
	s_or_b32 s37, s37, 0x40000                                 // 000000002BD4: 8725FF25 00040000
	v_accvgpr_write_b32 a143, 0                                // 000000002BDC: D3D9408F 18000080
	v_mov_b32_e32 v183, 0                                      // 000000002BE4: 7F6E0280
	s_waitcnt lgkmcnt(0)                                       // 000000002BE8: BF8CC07F
	s_mul_i32 s60, s3, 0x70                                    // 000000002BEC: 923CFF03 00000070
	s_cmp_lt_i32 s60, s48                                      // 000000002BF4: BF04303C
	s_cbranch_scc0 label_2A06                                  // 000000002BF8: BF842984
	s_mov_b32 s80, 0                                           // 000000002BFC: BED00080
	s_lshr_b32 s81, s64, s88                                   // 000000002C00: 8F515840
	s_mul_i32 s60, s3, 4                                       // 000000002C04: 923C8403
	s_add_u32 s44, s60, s44                                    // 000000002C08: 802C2C3C
	s_addc_u32 s45, 0, s45                                     // 000000002C0C: 822D2D80
	s_load_dword s5, s[44:45], 0x0                             // 000000002C10: C0020156 00000000
	s_mul_i32 s60, s3, 0x70                                    // 000000002C18: 923CFF03 00000070
	s_mul_i32 s60, 4, s60                                      // 000000002C20: 923C3C84
	s_add_u32 s12, s60, s12                                    // 000000002C24: 800C0C3C
	s_addc_u32 s13, 0, s13                                     // 000000002C28: 820D0D80
	v_and_b32_e32 v4, 15, v0                                   // 000000002C2C: 2608008F
	v_lshlrev_b32_e32 v4, 2, v4                                // 000000002C30: 24080882
	buffer_load_dword v28, v4, s[12:15], 0 offen               // 000000002C34: E0501000 80031C04
	v_add_u32_e32 v4, 64, v4                                   // 000000002C3C: 680808C0
	buffer_load_dword v29, v4, s[12:15], 0 offen               // 000000002C40: E0501000 80031D04
	v_add_u32_e32 v4, 64, v4                                   // 000000002C48: 680808C0
	buffer_load_dword v30, v4, s[12:15], 0 offen               // 000000002C4C: E0501000 80031E04
	v_add_u32_e32 v4, 64, v4                                   // 000000002C54: 680808C0
	buffer_load_dword v31, v4, s[12:15], 0 offen               // 000000002C58: E0501000 80031F04
	v_add_u32_e32 v4, 64, v4                                   // 000000002C60: 680808C0
	buffer_load_dword v32, v4, s[12:15], 0 offen               // 000000002C64: E0501000 80032004
	v_add_u32_e32 v4, 64, v4                                   // 000000002C6C: 680808C0
	buffer_load_dword v33, v4, s[12:15], 0 offen               // 000000002C70: E0501000 80032104
	v_add_u32_e32 v4, 64, v4                                   // 000000002C78: 680808C0
	buffer_load_dword v34, v4, s[12:15], 0 offen               // 000000002C7C: E0501000 80032204
	v_add_u32_e32 v4, 64, v4                                   // 000000002C84: 680808C0
	s_mul_i32 s60, 4, s7                                       // 000000002C88: 923C0784
	v_lshlrev_b32_e32 v4, 4, v0                                // 000000002C8C: 24080084
	v_add_u32_e32 v4, s60, v4                                  // 000000002C90: 6808083C
	buffer_load_dword v3, v4, s[12:15], 0 offen                // 000000002C94: E0501000 80030304
	v_mov_b32_e32 v72, 0                                       // 000000002C9C: 7E900280
	v_mov_b32_e32 v128, 0                                      // 000000002CA0: 7F000280
	v_mov_b32_e32 v73, 0                                       // 000000002CA4: 7E920280
	v_mov_b32_e32 v129, 0                                      // 000000002CA8: 7F020280
	v_mov_b32_e32 v74, 0                                       // 000000002CAC: 7E940280
	v_mov_b32_e32 v130, 0                                      // 000000002CB0: 7F040280
	v_mov_b32_e32 v75, 0                                       // 000000002CB4: 7E960280
	v_mov_b32_e32 v131, 0                                      // 000000002CB8: 7F060280
	v_mov_b32_e32 v76, 0                                       // 000000002CBC: 7E980280
	v_mov_b32_e32 v132, 0                                      // 000000002CC0: 7F080280
	v_mov_b32_e32 v77, 0                                       // 000000002CC4: 7E9A0280
	v_mov_b32_e32 v133, 0                                      // 000000002CC8: 7F0A0280
	v_mov_b32_e32 v78, 0                                       // 000000002CCC: 7E9C0280
	v_mov_b32_e32 v134, 0                                      // 000000002CD0: 7F0C0280
	v_mov_b32_e32 v79, 0                                       // 000000002CD4: 7E9E0280
	v_mov_b32_e32 v135, 0                                      // 000000002CD8: 7F0E0280
	v_mov_b32_e32 v80, 0                                       // 000000002CDC: 7EA00280
	v_mov_b32_e32 v136, 0                                      // 000000002CE0: 7F100280
	v_mov_b32_e32 v81, 0                                       // 000000002CE4: 7EA20280
	v_mov_b32_e32 v137, 0                                      // 000000002CE8: 7F120280
	v_mov_b32_e32 v82, 0                                       // 000000002CEC: 7EA40280
	v_mov_b32_e32 v138, 0                                      // 000000002CF0: 7F140280
	v_mov_b32_e32 v83, 0                                       // 000000002CF4: 7EA60280
	v_mov_b32_e32 v139, 0                                      // 000000002CF8: 7F160280
	v_mov_b32_e32 v84, 0                                       // 000000002CFC: 7EA80280
	v_mov_b32_e32 v140, 0                                      // 000000002D00: 7F180280
	v_mov_b32_e32 v85, 0                                       // 000000002D04: 7EAA0280
	v_mov_b32_e32 v141, 0                                      // 000000002D08: 7F1A0280
	v_mov_b32_e32 v86, 0                                       // 000000002D0C: 7EAC0280
	v_mov_b32_e32 v142, 0                                      // 000000002D10: 7F1C0280
	v_mov_b32_e32 v87, 0                                       // 000000002D14: 7EAE0280
	v_mov_b32_e32 v143, 0                                      // 000000002D18: 7F1E0280
	v_mov_b32_e32 v88, 0                                       // 000000002D1C: 7EB00280
	v_mov_b32_e32 v144, 0                                      // 000000002D20: 7F200280
	v_mov_b32_e32 v89, 0                                       // 000000002D24: 7EB20280
	v_mov_b32_e32 v145, 0                                      // 000000002D28: 7F220280
	v_mov_b32_e32 v90, 0                                       // 000000002D2C: 7EB40280
	v_mov_b32_e32 v146, 0                                      // 000000002D30: 7F240280
	v_mov_b32_e32 v91, 0                                       // 000000002D34: 7EB60280
	v_mov_b32_e32 v147, 0                                      // 000000002D38: 7F260280
	v_mov_b32_e32 v92, 0                                       // 000000002D3C: 7EB80280
	v_mov_b32_e32 v148, 0                                      // 000000002D40: 7F280280
	v_mov_b32_e32 v93, 0                                       // 000000002D44: 7EBA0280
	v_mov_b32_e32 v149, 0                                      // 000000002D48: 7F2A0280
	v_mov_b32_e32 v94, 0                                       // 000000002D4C: 7EBC0280
	v_mov_b32_e32 v150, 0                                      // 000000002D50: 7F2C0280
	v_mov_b32_e32 v95, 0                                       // 000000002D54: 7EBE0280
	v_mov_b32_e32 v151, 0                                      // 000000002D58: 7F2E0280
	v_mov_b32_e32 v96, 0                                       // 000000002D5C: 7EC00280
	v_mov_b32_e32 v152, 0                                      // 000000002D60: 7F300280
	v_mov_b32_e32 v97, 0                                       // 000000002D64: 7EC20280
	v_mov_b32_e32 v153, 0                                      // 000000002D68: 7F320280
	v_mov_b32_e32 v98, 0                                       // 000000002D6C: 7EC40280
	v_mov_b32_e32 v154, 0                                      // 000000002D70: 7F340280
	v_mov_b32_e32 v99, 0                                       // 000000002D74: 7EC60280
	v_mov_b32_e32 v155, 0                                      // 000000002D78: 7F360280
	v_mov_b32_e32 v100, 0                                      // 000000002D7C: 7EC80280
	v_mov_b32_e32 v156, 0                                      // 000000002D80: 7F380280
	v_mov_b32_e32 v101, 0                                      // 000000002D84: 7ECA0280
	v_mov_b32_e32 v157, 0                                      // 000000002D88: 7F3A0280
	v_mov_b32_e32 v102, 0                                      // 000000002D8C: 7ECC0280
	v_mov_b32_e32 v158, 0                                      // 000000002D90: 7F3C0280
	v_mov_b32_e32 v103, 0                                      // 000000002D94: 7ECE0280
	v_mov_b32_e32 v159, 0                                      // 000000002D98: 7F3E0280
	v_mov_b32_e32 v104, 0                                      // 000000002D9C: 7ED00280
	v_mov_b32_e32 v160, 0                                      // 000000002DA0: 7F400280
	v_mov_b32_e32 v105, 0                                      // 000000002DA4: 7ED20280
	v_mov_b32_e32 v161, 0                                      // 000000002DA8: 7F420280
	v_mov_b32_e32 v106, 0                                      // 000000002DAC: 7ED40280
	v_mov_b32_e32 v162, 0                                      // 000000002DB0: 7F440280
	v_mov_b32_e32 v107, 0                                      // 000000002DB4: 7ED60280
	v_mov_b32_e32 v163, 0                                      // 000000002DB8: 7F460280
	v_mov_b32_e32 v108, 0                                      // 000000002DBC: 7ED80280
	v_mov_b32_e32 v164, 0                                      // 000000002DC0: 7F480280
	v_mov_b32_e32 v109, 0                                      // 000000002DC4: 7EDA0280
	v_mov_b32_e32 v165, 0                                      // 000000002DC8: 7F4A0280
	v_mov_b32_e32 v110, 0                                      // 000000002DCC: 7EDC0280
	v_mov_b32_e32 v166, 0                                      // 000000002DD0: 7F4C0280
	v_mov_b32_e32 v111, 0                                      // 000000002DD4: 7EDE0280
	v_mov_b32_e32 v167, 0                                      // 000000002DD8: 7F4E0280
	v_mov_b32_e32 v112, 0                                      // 000000002DDC: 7EE00280
	v_mov_b32_e32 v168, 0                                      // 000000002DE0: 7F500280
	v_mov_b32_e32 v113, 0                                      // 000000002DE4: 7EE20280
	v_mov_b32_e32 v169, 0                                      // 000000002DE8: 7F520280
	v_mov_b32_e32 v114, 0                                      // 000000002DEC: 7EE40280
	v_mov_b32_e32 v170, 0                                      // 000000002DF0: 7F540280
	v_mov_b32_e32 v115, 0                                      // 000000002DF4: 7EE60280
	v_mov_b32_e32 v171, 0                                      // 000000002DF8: 7F560280
	v_mov_b32_e32 v116, 0                                      // 000000002DFC: 7EE80280
	v_mov_b32_e32 v172, 0                                      // 000000002E00: 7F580280
	v_mov_b32_e32 v117, 0                                      // 000000002E04: 7EEA0280
	v_mov_b32_e32 v173, 0                                      // 000000002E08: 7F5A0280
	v_mov_b32_e32 v118, 0                                      // 000000002E0C: 7EEC0280
	v_mov_b32_e32 v174, 0                                      // 000000002E10: 7F5C0280
	v_mov_b32_e32 v119, 0                                      // 000000002E14: 7EEE0280
	v_mov_b32_e32 v175, 0                                      // 000000002E18: 7F5E0280
	v_mov_b32_e32 v120, 0                                      // 000000002E1C: 7EF00280
	v_mov_b32_e32 v176, 0                                      // 000000002E20: 7F600280
	v_mov_b32_e32 v121, 0                                      // 000000002E24: 7EF20280
	v_mov_b32_e32 v177, 0                                      // 000000002E28: 7F620280
	v_mov_b32_e32 v122, 0                                      // 000000002E2C: 7EF40280
	v_mov_b32_e32 v178, 0                                      // 000000002E30: 7F640280
	v_mov_b32_e32 v123, 0                                      // 000000002E34: 7EF60280
	v_mov_b32_e32 v179, 0                                      // 000000002E38: 7F660280
	v_mov_b32_e32 v124, 0                                      // 000000002E3C: 7EF80280
	v_mov_b32_e32 v180, 0                                      // 000000002E40: 7F680280
	v_mov_b32_e32 v125, 0                                      // 000000002E44: 7EFA0280
	v_mov_b32_e32 v181, 0                                      // 000000002E48: 7F6A0280
	v_mov_b32_e32 v126, 0                                      // 000000002E4C: 7EFC0280
	v_mov_b32_e32 v182, 0                                      // 000000002E50: 7F6C0280
	v_mov_b32_e32 v127, 0                                      // 000000002E54: 7EFE0280
	v_mov_b32_e32 v183, 0                                      // 000000002E58: 7F6E0280
	s_mul_i32 s60, s2, 0x100                                   // 000000002E5C: 923CFF02 00000100
	s_cmp_eq_u32 s88, 0                                        // 000000002E64: BF068058
	s_cselect_b32 s61, 1, 2                                    // 000000002E68: 853D8281
	s_mul_i32 s60, s60, s61                                    // 000000002E6C: 923C3D3C
	s_mov_b32 s90, s8                                          // 000000002E70: BEDA0008
	s_mov_b32 s91, s9                                          // 000000002E74: BEDB0009
	s_add_u32 s8, s60, s8                                      // 000000002E78: 8008083C
	s_addc_u32 s9, 0, s9                                       // 000000002E7C: 82090980
	v_lshrrev_b32_e32 v4, 4, v0                                // 000000002E80: 20080084
	v_mul_lo_u32 v20, 34, v4                                   // 000000002E84: D2850014 000208A2
	v_and_b32_e32 v4, 15, v0                                   // 000000002E8C: 2608008F
	v_mul_lo_u32 v5, 2, v4                                     // 000000002E90: D2850005 00020882
	v_add_u32_e32 v20, v5, v20                                 // 000000002E98: 68282905
	s_mul_i32 s60, s7, 0x88                                    // 000000002E9C: 923CFF07 00000088
	v_add_u32_e32 v20, s60, v20                                // 000000002EA4: 6828283C
	v_lshlrev_b32_e32 v20, 2, v20                              // 000000002EA8: 24282882
	v_and_b32_e32 v4, 31, v0                                   // 000000002EAC: 2608009F
	v_lshrrev_b32_e32 v4, 1, v4                                // 000000002EB0: 20080881
	v_mul_lo_u32 v21, 34, v4                                   // 000000002EB4: D2850015 000208A2
	v_lshrrev_b32_e32 v4, 5, v0                                // 000000002EBC: 20080085
	v_mul_lo_u32 v4, 8, v4                                     // 000000002EC0: D2850004 00020888
	v_add_u32_e32 v21, v21, v4                                 // 000000002EC8: 682A0915
	v_and_b32_e32 v5, 1, v0                                    // 000000002ECC: 260A0081
	v_add_u32_e32 v21, v5, v21                                 // 000000002ED0: 682A2B05
	s_mul_i32 s60, s7, 2                                       // 000000002ED4: 923C8207
	v_add_u32_e32 v21, s60, v21                                // 000000002ED8: 682A2A3C
	v_lshlrev_b32_e32 v21, 2, v21                              // 000000002EDC: 242A2A82
	s_mul_i32 s60, s7, 0xe20                                   // 000000002EE0: 923CFF07 00000E20
	s_add_u32 s48, 0, s60                                      // 000000002EE8: 80303C80
	s_add_u32 s49, 0x3880, s48                                 // 000000002EEC: 803130FF 00003880
	v_lshrrev_b32_e32 v4, 4, v0                                // 000000002EF4: 20080084
	v_lshlrev_b32_e32 v5, 2, v4                                // 000000002EF8: 240A0882
	v_and_b32_e32 v4, 15, v0                                   // 000000002EFC: 2608008F
	v_lshrrev_b32_e32 v6, 2, v4                                // 000000002F00: 200C0882
	v_lshlrev_b32_e32 v6, 5, v6                                // 000000002F04: 240C0C85
	v_add_u32_e32 v5, v6, v5                                   // 000000002F08: 680A0B06
	v_and_b32_e32 v4, 3, v0                                    // 000000002F0C: 26080083
	v_mul_u32_u24_e32 v6, 0x388, v4                            // 000000002F10: 100C08FF 00000388
	v_add_u32_e32 v5, v6, v5                                   // 000000002F18: 680A0B06
	v_lshlrev_b32_e32 v2, 2, v5                                // 000000002F1C: 24040A82
	s_waitcnt lgkmcnt(0)                                       // 000000002F20: BF8CC07F
	s_mul_i32 s60, s2, 0x80                                    // 000000002F24: 923CFF02 00000080
	s_mul_i32 s60, s60, s69                                    // 000000002F2C: 923C453C
	s_mul_i32 s61, s5, s72                                     // 000000002F30: 923D4805
	s_add_u32 s60, s61, s60                                    // 000000002F34: 803C3C3D
	s_add_u32 s24, s60, s24                                    // 000000002F38: 8018183C
	s_addc_u32 s25, 0, s25                                     // 000000002F3C: 82191980
	s_lshr_b32 s60, s64, s88                                   // 000000002F40: 8F3C5840
	s_mul_i32 s60, s4, s60                                     // 000000002F44: 923C3C04
	s_lshr_b32 s60, s60, 7                                     // 000000002F48: 8F3C873C
	s_mul_i32 s60, s60, 0x800                                  // 000000002F4C: 923CFF3C 00000800
	s_add_u32 s24, s60, s24                                    // 000000002F54: 8018183C
	s_addc_u32 s25, 0, s25                                     // 000000002F58: 82191980
	s_lshr_b32 s60, s69, s88                                   // 000000002F5C: 8F3C5845
	s_mul_i32 s60, s4, s60                                     // 000000002F60: 923C3C04
	s_add_u32 s20, s60, s20                                    // 000000002F64: 8014143C
	s_addc_u32 s21, 0, s21                                     // 000000002F68: 82151580
	s_mul_i32 s60, s7, 16                                      // 000000002F6C: 923C9007
	s_mul_i32 s60, s60, s69                                    // 000000002F70: 923C453C
	v_lshlrev_b32_e32 v70, 4, v0                               // 000000002F74: 248C0084
	v_add_u32_e32 v70, s60, v70                                // 000000002F78: 688C8C3C
	s_mul_i32 s60, 64, s69                                     // 000000002F7C: 923C45C0
	v_add_u32_e32 v71, s60, v70                                // 000000002F80: 688E8C3C
	s_mov_b32 s84, s24                                         // 000000002F84: BED40018
	s_mov_b32 s85, s25                                         // 000000002F88: BED50019
	s_mov_b32 s86, s26                                         // 000000002F8C: BED6001A
	s_mov_b32 s87, s27                                         // 000000002F90: BED7001B
	s_mul_i32 s60, s69, s65                                    // 000000002F94: 923C4145
	s_add_u32 s84, s60, s84                                    // 000000002F98: 8054543C
	s_addc_u32 s85, 0, s85                                     // 000000002F9C: 82555580
	v_lshrrev_b32_e32 v4, 4, v0                                // 000000002FA0: 20080084
	v_lshlrev_b32_e32 v5, 2, v4                                // 000000002FA4: 240A0882
	v_and_b32_e32 v4, 15, v0                                   // 000000002FA8: 2608008F
	v_lshrrev_b32_e32 v6, 2, v4                                // 000000002FAC: 200C0882
	v_lshlrev_b32_e32 v6, 6, v6                                // 000000002FB0: 240C0C86
	v_add_u32_e32 v5, v6, v5                                   // 000000002FB4: 680A0B06
	v_and_b32_e32 v4, 3, v0                                    // 000000002FB8: 26080083
	v_add_u32_e32 v5, v4, v5                                   // 000000002FBC: 680A0B04
	v_lshlrev_b32_e32 v22, 2, v5                               // 000000002FC0: 242C0A82
	s_mul_i32 s60, s7, 16                                      // 000000002FC4: 923C9007
	s_mul_i32 s60, s60, 4                                      // 000000002FC8: 923C843C
	v_add_u32_e32 v22, s60, v22                                // 000000002FCC: 682C2C3C
	s_mul_i32 s60, s2, 0x80                                    // 000000002FD0: 923CFF02 00000080
	s_mul_i32 s60, s60, 4                                      // 000000002FD8: 923C843C
	s_mul_i32 s61, s5, s74                                     // 000000002FDC: 923D4A05
	s_add_u32 s61, s61, s60                                    // 000000002FE0: 803D3C3D
	s_add_u32 s32, s61, s32                                    // 000000002FE4: 8020203D
	s_addc_u32 s33, 0, s33                                     // 000000002FE8: 82212180
	s_mov_b32 s57, 0x80                                        // 000000002FEC: BEB900FF 00000080
	s_mov_b32 s58, 0x800                                       // 000000002FF4: BEBA00FF 00000800
	s_mov_b32 s83, s58                                         // 000000002FFC: BED3003A
	s_mov_b32 s52, 0x7060302                                   // 000000003000: BEB400FF 07060302
	s_mov_b32 s53, 0x400                                       // 000000003008: BEB500FF 00000400
	s_mov_b32 s54, 0x40100                                     // 000000003010: BEB600FF 00040100
	s_mov_b32 s55, 0x4020100                                   // 000000003018: BEB700FF 04020100
	s_mov_b32 s6, 0x3fb8aa3b                                   // 000000003020: BE8600FF 3FB8AA3B
	s_mov_b32 s78, 0xbd92220c                                  // 000000003028: BECE00FF BD92220C
	s_mov_b32 s79, 0xbd92220c                                  // 000000003030: BECF00FF BD92220C
	s_mov_b32 m0, s48                                          // 000000003038: BEFC0030
	v_mov_b32_e32 v1, 0xbfcc4231                               // 00000000303C: 7E0202FF BFCC4231
	v_mov_b32_e32 v17, 0xffff0000                              // 000000003044: 7E2202FF FFFF0000
	v_mov_b32_e32 v18, 0x7fff0000                              // 00000000304C: 7E2402FF 7FFF0000
	v_mov_b32_e32 v19, 0x7fff                                  // 000000003054: 7E2602FF 00007FFF
	s_waitcnt vmcnt(0) expcnt(0) lgkmcnt(0)                    // 00000000305C: BF8C0000
	v_lshrrev_b32_e32 v4, 5, v0                                // 000000003060: 20080085
	v_xor_b32_e32 v5, 1, v4                                    // 000000003064: 2A0A0881
	v_readlane_b32 s82, v3, 0                                  // 000000003068: D2890052 00010103
	s_and_b32 s82, s82, 0xffffff                               // 000000003070: 8652FF52 00FFFFFF
	v_mul_lo_u32 v6, v5, s82                                   // 000000003078: D2850006 0000A505
	v_readlane_b32 s82, v3, 1                                  // 000000003080: D2890052 00010303
	s_and_b32 s82, s82, 0xffffff                               // 000000003088: 8652FF52 00FFFFFF
	v_mul_lo_u32 v7, v4, s82                                   // 000000003090: D2850007 0000A504
	v_add_u32_e32 v56, v6, v7                                  // 000000003098: 68700F06
	v_mul_lo_u32 v56, v56, s68                                 // 00000000309C: D2850038 00008938
	v_readlane_b32 s82, v3, 2                                  // 0000000030A4: D2890052 00010503
	s_and_b32 s82, s82, 0xffffff                               // 0000000030AC: 8652FF52 00FFFFFF
	v_mul_lo_u32 v6, v5, s82                                   // 0000000030B4: D2850006 0000A505
	v_readlane_b32 s82, v3, 3                                  // 0000000030BC: D2890052 00010703
	s_and_b32 s82, s82, 0xffffff                               // 0000000030C4: 8652FF52 00FFFFFF
	v_mul_lo_u32 v7, v4, s82                                   // 0000000030CC: D2850007 0000A504
	v_add_u32_e32 v57, v6, v7                                  // 0000000030D4: 68720F06
	v_mul_lo_u32 v57, v57, s68                                 // 0000000030D8: D2850039 00008939
	v_readlane_b32 s82, v3, 4                                  // 0000000030E0: D2890052 00010903
	s_and_b32 s82, s82, 0xffffff                               // 0000000030E8: 8652FF52 00FFFFFF
	v_mul_lo_u32 v6, v5, s82                                   // 0000000030F0: D2850006 0000A505
	v_readlane_b32 s82, v3, 5                                  // 0000000030F8: D2890052 00010B03
	s_and_b32 s82, s82, 0xffffff                               // 000000003100: 8652FF52 00FFFFFF
	v_mul_lo_u32 v7, v4, s82                                   // 000000003108: D2850007 0000A504
	v_add_u32_e32 v58, v6, v7                                  // 000000003110: 68740F06
	v_mul_lo_u32 v58, v58, s68                                 // 000000003114: D285003A 0000893A
	v_readlane_b32 s82, v3, 6                                  // 00000000311C: D2890052 00010D03
	s_and_b32 s82, s82, 0xffffff                               // 000000003124: 8652FF52 00FFFFFF
	v_mul_lo_u32 v6, v5, s82                                   // 00000000312C: D2850006 0000A505
	v_readlane_b32 s82, v3, 7                                  // 000000003134: D2890052 00010F03
	s_and_b32 s82, s82, 0xffffff                               // 00000000313C: 8652FF52 00FFFFFF
	v_mul_lo_u32 v7, v4, s82                                   // 000000003144: D2850007 0000A504
	v_add_u32_e32 v59, v6, v7                                  // 00000000314C: 68760F06
	v_mul_lo_u32 v59, v59, s68                                 // 000000003150: D285003B 0000893B
	v_readlane_b32 s82, v3, 8                                  // 000000003158: D2890052 00011103
	s_and_b32 s82, s82, 0xffffff                               // 000000003160: 8652FF52 00FFFFFF
	v_mul_lo_u32 v6, v5, s82                                   // 000000003168: D2850006 0000A505
	v_readlane_b32 s82, v3, 9                                  // 000000003170: D2890052 00011303
	s_and_b32 s82, s82, 0xffffff                               // 000000003178: 8652FF52 00FFFFFF
	v_mul_lo_u32 v7, v4, s82                                   // 000000003180: D2850007 0000A504
	v_add_u32_e32 v60, v6, v7                                  // 000000003188: 68780F06
	v_mul_lo_u32 v60, v60, s68                                 // 00000000318C: D285003C 0000893C
	v_readlane_b32 s82, v3, 10                                 // 000000003194: D2890052 00011503
	s_and_b32 s82, s82, 0xffffff                               // 00000000319C: 8652FF52 00FFFFFF
	v_mul_lo_u32 v6, v5, s82                                   // 0000000031A4: D2850006 0000A505
	v_readlane_b32 s82, v3, 11                                 // 0000000031AC: D2890052 00011703
	s_and_b32 s82, s82, 0xffffff                               // 0000000031B4: 8652FF52 00FFFFFF
	v_mul_lo_u32 v7, v4, s82                                   // 0000000031BC: D2850007 0000A504
	v_add_u32_e32 v61, v6, v7                                  // 0000000031C4: 687A0F06
	v_mul_lo_u32 v61, v61, s68                                 // 0000000031C8: D285003D 0000893D
	v_readlane_b32 s82, v3, 12                                 // 0000000031D0: D2890052 00011903
	s_and_b32 s82, s82, 0xffffff                               // 0000000031D8: 8652FF52 00FFFFFF
	v_mul_lo_u32 v6, v5, s82                                   // 0000000031E0: D2850006 0000A505
	v_readlane_b32 s82, v3, 13                                 // 0000000031E8: D2890052 00011B03
	s_and_b32 s82, s82, 0xffffff                               // 0000000031F0: 8652FF52 00FFFFFF
	v_mul_lo_u32 v7, v4, s82                                   // 0000000031F8: D2850007 0000A504
	v_add_u32_e32 v62, v6, v7                                  // 000000003200: 687C0F06
	v_mul_lo_u32 v62, v62, s68                                 // 000000003204: D285003E 0000893E
	v_readlane_b32 s82, v3, 14                                 // 00000000320C: D2890052 00011D03
	s_and_b32 s82, s82, 0xffffff                               // 000000003214: 8652FF52 00FFFFFF
	v_mul_lo_u32 v6, v5, s82                                   // 00000000321C: D2850006 0000A505
	v_readlane_b32 s82, v3, 15                                 // 000000003224: D2890052 00011F03
	s_and_b32 s82, s82, 0xffffff                               // 00000000322C: 8652FF52 00FFFFFF
	v_mul_lo_u32 v7, v4, s82                                   // 000000003234: D2850007 0000A504
	v_add_u32_e32 v63, v6, v7                                  // 00000000323C: 687E0F06
	v_mul_lo_u32 v63, v63, s68                                 // 000000003240: D285003F 0000893F
	v_readlane_b32 s82, v3, 16                                 // 000000003248: D2890052 00012103
	s_and_b32 s82, s82, 0xffffff                               // 000000003250: 8652FF52 00FFFFFF
	v_mul_lo_u32 v6, v5, s82                                   // 000000003258: D2850006 0000A505
	v_readlane_b32 s82, v3, 17                                 // 000000003260: D2890052 00012303
	s_and_b32 s82, s82, 0xffffff                               // 000000003268: 8652FF52 00FFFFFF
	v_mul_lo_u32 v7, v4, s82                                   // 000000003270: D2850007 0000A504
	v_add_u32_e32 v64, v6, v7                                  // 000000003278: 68800F06
	v_mul_lo_u32 v64, v64, s68                                 // 00000000327C: D2850040 00008940
	v_readlane_b32 s82, v3, 18                                 // 000000003284: D2890052 00012503
	s_and_b32 s82, s82, 0xffffff                               // 00000000328C: 8652FF52 00FFFFFF
	v_mul_lo_u32 v6, v5, s82                                   // 000000003294: D2850006 0000A505
	v_readlane_b32 s82, v3, 19                                 // 00000000329C: D2890052 00012703
	s_and_b32 s82, s82, 0xffffff                               // 0000000032A4: 8652FF52 00FFFFFF
	v_mul_lo_u32 v7, v4, s82                                   // 0000000032AC: D2850007 0000A504
	v_add_u32_e32 v65, v6, v7                                  // 0000000032B4: 68820F06
	v_mul_lo_u32 v65, v65, s68                                 // 0000000032B8: D2850041 00008941
	v_readlane_b32 s82, v3, 20                                 // 0000000032C0: D2890052 00012903
	s_and_b32 s82, s82, 0xffffff                               // 0000000032C8: 8652FF52 00FFFFFF
	v_mul_lo_u32 v6, v5, s82                                   // 0000000032D0: D2850006 0000A505
	v_readlane_b32 s82, v3, 21                                 // 0000000032D8: D2890052 00012B03
	s_and_b32 s82, s82, 0xffffff                               // 0000000032E0: 8652FF52 00FFFFFF
	v_mul_lo_u32 v7, v4, s82                                   // 0000000032E8: D2850007 0000A504
	v_add_u32_e32 v66, v6, v7                                  // 0000000032F0: 68840F06
	v_mul_lo_u32 v66, v66, s68                                 // 0000000032F4: D2850042 00008942
	v_readlane_b32 s82, v3, 22                                 // 0000000032FC: D2890052 00012D03
	s_and_b32 s82, s82, 0xffffff                               // 000000003304: 8652FF52 00FFFFFF
	v_mul_lo_u32 v6, v5, s82                                   // 00000000330C: D2850006 0000A505
	v_readlane_b32 s82, v3, 23                                 // 000000003314: D2890052 00012F03
	s_and_b32 s82, s82, 0xffffff                               // 00000000331C: 8652FF52 00FFFFFF
	v_mul_lo_u32 v7, v4, s82                                   // 000000003324: D2850007 0000A504
	v_add_u32_e32 v67, v6, v7                                  // 00000000332C: 68860F06
	v_mul_lo_u32 v67, v67, s68                                 // 000000003330: D2850043 00008943
	v_readlane_b32 s82, v3, 24                                 // 000000003338: D2890052 00013103
	s_and_b32 s82, s82, 0xffffff                               // 000000003340: 8652FF52 00FFFFFF
	v_mul_lo_u32 v6, v5, s82                                   // 000000003348: D2850006 0000A505
	v_readlane_b32 s82, v3, 25                                 // 000000003350: D2890052 00013303
	s_and_b32 s82, s82, 0xffffff                               // 000000003358: 8652FF52 00FFFFFF
	v_mul_lo_u32 v7, v4, s82                                   // 000000003360: D2850007 0000A504
	v_add_u32_e32 v68, v6, v7                                  // 000000003368: 68880F06
	v_mul_lo_u32 v68, v68, s68                                 // 00000000336C: D2850044 00008944
	v_readlane_b32 s82, v3, 26                                 // 000000003374: D2890052 00013503
	s_and_b32 s82, s82, 0xffffff                               // 00000000337C: 8652FF52 00FFFFFF
	v_mul_lo_u32 v6, v5, s82                                   // 000000003384: D2850006 0000A505
	v_readlane_b32 s82, v3, 27                                 // 00000000338C: D2890052 00013703
	s_and_b32 s82, s82, 0xffffff                               // 000000003394: 8652FF52 00FFFFFF
	v_mul_lo_u32 v7, v4, s82                                   // 00000000339C: D2850007 0000A504
	v_add_u32_e32 v69, v6, v7                                  // 0000000033A4: 688A0F06
	v_mul_lo_u32 v69, v69, s68                                 // 0000000033A8: D2850045 00008945
	v_and_b32_e32 v4, 31, v0                                   // 0000000033B0: 2608009F
	v_lshlrev_b32_e32 v4, 2, v4                                // 0000000033B4: 24080882
	v_add_u32_e32 v56, v56, v4                                 // 0000000033B8: 68700938
	v_add_u32_e32 v57, v57, v4                                 // 0000000033BC: 68720939
	v_add_u32_e32 v58, v58, v4                                 // 0000000033C0: 6874093A
	v_add_u32_e32 v59, v59, v4                                 // 0000000033C4: 6876093B
	v_add_u32_e32 v60, v60, v4                                 // 0000000033C8: 6878093C
	v_add_u32_e32 v61, v61, v4                                 // 0000000033CC: 687A093D
	v_add_u32_e32 v62, v62, v4                                 // 0000000033D0: 687C093E
	v_add_u32_e32 v63, v63, v4                                 // 0000000033D4: 687E093F
	v_add_u32_e32 v64, v64, v4                                 // 0000000033D8: 68800940
	v_add_u32_e32 v65, v65, v4                                 // 0000000033DC: 68820941
	v_add_u32_e32 v66, v66, v4                                 // 0000000033E0: 68840942
	v_add_u32_e32 v67, v67, v4                                 // 0000000033E4: 68860943
	v_add_u32_e32 v68, v68, v4                                 // 0000000033E8: 68880944
	v_add_u32_e32 v69, v69, v4                                 // 0000000033EC: 688A0945
	v_and_b32_e32 v28, 0xffffff, v28                           // 0000000033F0: 263838FF 00FFFFFF
	v_lshlrev_b32_e32 v28, 2, v28                              // 0000000033F8: 24383882
	v_and_b32_e32 v29, 0xffffff, v29                           // 0000000033FC: 263A3AFF 00FFFFFF
	v_lshlrev_b32_e32 v29, 2, v29                              // 000000003404: 243A3A82
	v_and_b32_e32 v30, 0xffffff, v30                           // 000000003408: 263C3CFF 00FFFFFF
	v_lshlrev_b32_e32 v30, 2, v30                              // 000000003410: 243C3C82
	v_and_b32_e32 v31, 0xffffff, v31                           // 000000003414: 263E3EFF 00FFFFFF
	v_lshlrev_b32_e32 v31, 2, v31                              // 00000000341C: 243E3E82
	v_and_b32_e32 v32, 0xffffff, v32                           // 000000003420: 264040FF 00FFFFFF
	v_lshlrev_b32_e32 v32, 2, v32                              // 000000003428: 24404082
	v_and_b32_e32 v33, 0xffffff, v33                           // 00000000342C: 264242FF 00FFFFFF
	v_lshlrev_b32_e32 v33, 2, v33                              // 000000003434: 24424282
	v_and_b32_e32 v34, 0xffffff, v34                           // 000000003438: 264444FF 00FFFFFF
	v_lshlrev_b32_e32 v34, 2, v34                              // 000000003440: 24444482
	s_lshl_b32 s3, s66, 2                                      // 000000003444: 8E038242
	buffer_load_dword v35, v28, s[28:31], 0 offen              // 000000003448: E0501000 8007231C
	buffer_load_dword v36, v29, s[28:31], 0 offen              // 000000003450: E0501000 8007241D
	buffer_load_dword v37, v30, s[28:31], 0 offen              // 000000003458: E0501000 8007251E
	buffer_load_dword v38, v31, s[28:31], 0 offen              // 000000003460: E0501000 8007261F
	buffer_load_dword v39, v32, s[28:31], 0 offen              // 000000003468: E0501000 80072720
	buffer_load_dword v40, v33, s[28:31], 0 offen              // 000000003470: E0501000 80072821
	buffer_load_dword v41, v34, s[28:31], 0 offen              // 000000003478: E0501000 80072922
	buffer_load_dword v24, v22, s[32:35], 0 offen              // 000000003480: E0501000 80081816
	s_mul_i32 s60, 4, s65                                      // 000000003488: 923C4184
	s_add_u32 s32, s60, s32                                    // 00000000348C: 8020203C
	s_addc_u32 s33, 0, s33                                     // 000000003490: 82212180
	buffer_load_dword v26, v22, s[32:35], 0 offen              // 000000003494: E0501000 80081A16
	buffer_load_dword v56, s[20:23], 0 offen lds               // 00000000349C: E0511000 80050038
	s_add_u32 m0, 0x100, s48                                   // 0000000034A4: 807C30FF 00000100
	buffer_load_dword v57, s[20:23], 0 offen lds               // 0000000034AC: E0511000 80050039
	s_add_u32 m0, 0x200, s48                                   // 0000000034B4: 807C30FF 00000200
	buffer_load_dword v58, s[20:23], 0 offen lds               // 0000000034BC: E0511000 8005003A
	s_add_u32 m0, 0x300, s48                                   // 0000000034C4: 807C30FF 00000300
	buffer_load_dword v59, s[20:23], 0 offen lds               // 0000000034CC: E0511000 8005003B
	s_add_u32 m0, 0x400, s48                                   // 0000000034D4: 807C30FF 00000400
	buffer_load_dword v60, s[20:23], 0 offen lds               // 0000000034DC: E0511000 8005003C
	s_add_u32 m0, 0x500, s48                                   // 0000000034E4: 807C30FF 00000500
	buffer_load_dword v61, s[20:23], 0 offen lds               // 0000000034EC: E0511000 8005003D
	s_add_u32 m0, 0x600, s48                                   // 0000000034F4: 807C30FF 00000600
	buffer_load_dword v62, s[20:23], 0 offen lds               // 0000000034FC: E0511000 8005003E
	s_add_u32 m0, 0x700, s48                                   // 000000003504: 807C30FF 00000700
	buffer_load_dword v63, s[20:23], 0 offen lds               // 00000000350C: E0511000 8005003F
	s_add_u32 m0, 0x800, s48                                   // 000000003514: 807C30FF 00000800
	buffer_load_dword v64, s[20:23], 0 offen lds               // 00000000351C: E0511000 80050040
	s_add_u32 m0, 0x900, s48                                   // 000000003524: 807C30FF 00000900
	buffer_load_dword v65, s[20:23], 0 offen lds               // 00000000352C: E0511000 80050041
	s_add_u32 m0, 0xa00, s48                                   // 000000003534: 807C30FF 00000A00
	buffer_load_dword v66, s[20:23], 0 offen lds               // 00000000353C: E0511000 80050042
	s_add_u32 m0, 0xb00, s48                                   // 000000003544: 807C30FF 00000B00
	buffer_load_dword v67, s[20:23], 0 offen lds               // 00000000354C: E0511000 80050043
	s_add_u32 m0, 0xc00, s48                                   // 000000003554: 807C30FF 00000C00
	buffer_load_dword v68, s[20:23], 0 offen lds               // 00000000355C: E0511000 80050044
	s_add_u32 m0, 0xd00, s48                                   // 000000003564: 807C30FF 00000D00
	buffer_load_dword v69, s[20:23], 0 offen lds               // 00000000356C: E0511000 80050045
	s_add_u32 m0, 0, s49                                       // 000000003574: 807C3180
	s_add_u32 s20, s57, s20                                    // 000000003578: 80141439
	s_addc_u32 s21, 0, s21                                     // 00000000357C: 82151580
	buffer_load_dword v56, s[20:23], 0 offen lds               // 000000003580: E0511000 80050038
	s_add_u32 m0, 0x100, s49                                   // 000000003588: 807C31FF 00000100
	buffer_load_dword v57, s[20:23], 0 offen lds               // 000000003590: E0511000 80050039
	s_add_u32 m0, 0x200, s49                                   // 000000003598: 807C31FF 00000200
	buffer_load_dword v58, s[20:23], 0 offen lds               // 0000000035A0: E0511000 8005003A
	s_add_u32 m0, 0x300, s49                                   // 0000000035A8: 807C31FF 00000300
	buffer_load_dword v59, s[20:23], 0 offen lds               // 0000000035B0: E0511000 8005003B
	s_add_u32 m0, 0x400, s49                                   // 0000000035B8: 807C31FF 00000400
	buffer_load_dword v60, s[20:23], 0 offen lds               // 0000000035C0: E0511000 8005003C
	s_add_u32 m0, 0x500, s49                                   // 0000000035C8: 807C31FF 00000500
	buffer_load_dword v61, s[20:23], 0 offen lds               // 0000000035D0: E0511000 8005003D
	s_add_u32 m0, 0x600, s49                                   // 0000000035D8: 807C31FF 00000600
	buffer_load_dword v62, s[20:23], 0 offen lds               // 0000000035E0: E0511000 8005003E
	s_add_u32 m0, 0x700, s49                                   // 0000000035E8: 807C31FF 00000700
	buffer_load_dword v63, s[20:23], 0 offen lds               // 0000000035F0: E0511000 8005003F
	s_add_u32 m0, 0x800, s49                                   // 0000000035F8: 807C31FF 00000800
	buffer_load_dword v64, s[20:23], 0 offen lds               // 000000003600: E0511000 80050040
	s_add_u32 m0, 0x900, s49                                   // 000000003608: 807C31FF 00000900
	buffer_load_dword v65, s[20:23], 0 offen lds               // 000000003610: E0511000 80050041
	s_add_u32 m0, 0xa00, s49                                   // 000000003618: 807C31FF 00000A00
	buffer_load_dword v66, s[20:23], 0 offen lds               // 000000003620: E0511000 80050042
	s_add_u32 m0, 0xb00, s49                                   // 000000003628: 807C31FF 00000B00
	buffer_load_dword v67, s[20:23], 0 offen lds               // 000000003630: E0511000 80050043
	s_add_u32 m0, 0xc00, s49                                   // 000000003638: 807C31FF 00000C00
	buffer_load_dword v68, s[20:23], 0 offen lds               // 000000003640: E0511000 80050044
	s_add_u32 m0, 0xd00, s49                                   // 000000003648: 807C31FF 00000D00
	buffer_load_dword v69, s[20:23], 0 offen lds               // 000000003650: E0511000 80050045
	s_add_u32 m0, 0, s48                                       // 000000003658: 807C3080
	s_add_u32 s20, s57, s20                                    // 00000000365C: 80141439
	s_addc_u32 s21, 0, s21                                     // 000000003660: 82151580
	buffer_load_dwordx4 a[112:115], v70, s[24:27], 0 offen     // 000000003664: E05C1000 80867046
	buffer_load_dwordx4 a[116:119], v70, s[24:27], 0 offen offset:1024// 00000000366C: E05C1400 80867446
	buffer_load_dwordx4 a[120:123], v71, s[24:27], 0 offen     // 000000003674: E05C1000 80867847
	buffer_load_dwordx4 a[124:127], v71, s[24:27], 0 offen offset:1024// 00000000367C: E05C1400 80867C47
	s_add_u32 s24, s58, s24                                    // 000000003684: 8018183A
	s_addc_u32 s25, 0, s25                                     // 000000003688: 82191980
	s_waitcnt vmcnt(18)                                        // 00000000368C: BF8C4F72
	s_barrier                                                  // 000000003690: BF8A0000
	ds_read_b128 a[0:3], v2                                    // 000000003694: DBFE0000 00000002
	ds_read_b128 a[4:7], v2 offset:64                          // 00000000369C: DBFE0040 04000002
	ds_read_b128 a[8:11], v2 offset:512                        // 0000000036A4: DBFE0200 08000002
	ds_read_b128 a[12:15], v2 offset:576                       // 0000000036AC: DBFE0240 0C000002
	ds_read_b128 a[16:19], v2 offset:1024                      // 0000000036B4: DBFE0400 10000002
	ds_read_b128 a[20:23], v2 offset:1088                      // 0000000036BC: DBFE0440 14000002
	ds_read_b128 a[24:27], v2 offset:1536                      // 0000000036C4: DBFE0600 18000002
	ds_read_b128 a[28:31], v2 offset:1600                      // 0000000036CC: DBFE0640 1C000002
	ds_read_b128 a[32:35], v2 offset:2048                      // 0000000036D4: DBFE0800 20000002
	ds_read_b128 a[36:39], v2 offset:2112                      // 0000000036DC: DBFE0840 24000002
	ds_read_b128 a[40:43], v2 offset:2560                      // 0000000036E4: DBFE0A00 28000002
	ds_read_b128 a[44:47], v2 offset:2624                      // 0000000036EC: DBFE0A40 2C000002
	ds_read_b128 a[48:51], v2 offset:3072                      // 0000000036F4: DBFE0C00 30000002
	ds_read_b128 a[52:55], v2 offset:3136                      // 0000000036FC: DBFE0C40 34000002
	s_cmp_lt_i32 s7, 2                                         // 000000003704: BF048207
	s_cbranch_scc0 label_16A6                                  // 000000003708: BF841360

000000000000370c <label_0343>:
	s_waitcnt vmcnt(2) lgkmcnt(0)                              // 00000000370C: BF8C0072
	s_barrier                                                  // 000000003710: BF8A0000
	v_mfma_f32_16x16x32_fp8_fp8 v[72:75], a[112:113], a[0:1], v[72:75]// 000000003714: D3F30048 1D220170
	v_mfma_f32_16x16x32_fp8_fp8 v[72:75], a[114:115], a[2:3], v[72:75]// 00000000371C: D3F30048 1D220572
	buffer_load_dwordx4 a[128:131], v70, s[84:87], 0 offen     // 000000003724: E05C1000 80958046
	v_mfma_f32_16x16x32_fp8_fp8 v[72:75], a[116:117], a[4:5], v[72:75]// 00000000372C: D3F30048 1D220974
	v_mfma_f32_16x16x32_fp8_fp8 v[72:75], a[118:119], a[6:7], v[72:75]// 000000003734: D3F30048 1D220D76
	v_mfma_f32_16x16x32_fp8_fp8 v[76:79], a[112:113], a[8:9], v[76:79]// 00000000373C: D3F3004C 1D321170
	v_mfma_f32_16x16x32_fp8_fp8 v[76:79], a[114:115], a[10:11], v[76:79]// 000000003744: D3F3004C 1D321572
	buffer_load_dwordx4 a[132:135], v70, s[84:87], 0 offen offset:1024// 00000000374C: E05C1400 80958446
	v_mfma_f32_16x16x32_fp8_fp8 v[76:79], a[116:117], a[12:13], v[76:79]// 000000003754: D3F3004C 1D321974
	v_mfma_f32_16x16x32_fp8_fp8 v[76:79], a[118:119], a[14:15], v[76:79]// 00000000375C: D3F3004C 1D321D76
	v_mfma_f32_16x16x32_fp8_fp8 v[80:83], a[112:113], a[16:17], v[80:83]// 000000003764: D3F30050 1D422170
	v_mfma_f32_16x16x32_fp8_fp8 v[80:83], a[114:115], a[18:19], v[80:83]// 00000000376C: D3F30050 1D422572
	buffer_load_dwordx4 a[136:139], v71, s[84:87], 0 offen     // 000000003774: E05C1000 80958847
	v_mfma_f32_16x16x32_fp8_fp8 v[80:83], a[116:117], a[20:21], v[80:83]// 00000000377C: D3F30050 1D422974
	v_mfma_f32_16x16x32_fp8_fp8 v[80:83], a[118:119], a[22:23], v[80:83]// 000000003784: D3F30050 1D422D76
	v_mfma_f32_16x16x32_fp8_fp8 v[84:87], a[112:113], a[24:25], v[84:87]// 00000000378C: D3F30054 1D523170
	v_mfma_f32_16x16x32_fp8_fp8 v[84:87], a[114:115], a[26:27], v[84:87]// 000000003794: D3F30054 1D523572
	buffer_load_dwordx4 a[140:143], v71, s[84:87], 0 offen offset:1024// 00000000379C: E05C1400 80958C47
	buffer_load_dword v56, s[20:23], 0 offen lds               // 0000000037A4: E0511000 80050038
	s_add_u32 m0, 0x100, s48                                   // 0000000037AC: 807C30FF 00000100
	v_mfma_f32_16x16x32_fp8_fp8 v[84:87], a[116:117], a[28:29], v[84:87]// 0000000037B4: D3F30054 1D523974
	v_mfma_f32_16x16x32_fp8_fp8 v[84:87], a[118:119], a[30:31], v[84:87]// 0000000037BC: D3F30054 1D523D76
	buffer_load_dword v57, s[20:23], 0 offen lds               // 0000000037C4: E0511000 80050039
	s_add_u32 m0, 0x200, s48                                   // 0000000037CC: 807C30FF 00000200
	v_mfma_f32_16x16x32_fp8_fp8 v[88:91], a[112:113], a[32:33], v[88:91]// 0000000037D4: D3F30058 1D624170
	v_mfma_f32_16x16x32_fp8_fp8 v[88:91], a[114:115], a[34:35], v[88:91]// 0000000037DC: D3F30058 1D624572
	buffer_load_dword v58, s[20:23], 0 offen lds               // 0000000037E4: E0511000 8005003A
	s_add_u32 m0, 0x300, s48                                   // 0000000037EC: 807C30FF 00000300
	v_mfma_f32_16x16x32_fp8_fp8 v[88:91], a[116:117], a[36:37], v[88:91]// 0000000037F4: D3F30058 1D624974
	v_mfma_f32_16x16x32_fp8_fp8 v[88:91], a[118:119], a[38:39], v[88:91]// 0000000037FC: D3F30058 1D624D76
	buffer_load_dword v59, s[20:23], 0 offen lds               // 000000003804: E0511000 8005003B
	s_add_u32 m0, 0x400, s48                                   // 00000000380C: 807C30FF 00000400
	v_mfma_f32_16x16x32_fp8_fp8 v[92:95], a[112:113], a[40:41], v[92:95]// 000000003814: D3F3005C 1D725170
	v_mfma_f32_16x16x32_fp8_fp8 v[92:95], a[114:115], a[42:43], v[92:95]// 00000000381C: D3F3005C 1D725572
	buffer_load_dword v60, s[20:23], 0 offen lds               // 000000003824: E0511000 8005003C
	s_add_u32 m0, 0x500, s48                                   // 00000000382C: 807C30FF 00000500
	v_mfma_f32_16x16x32_fp8_fp8 v[92:95], a[116:117], a[44:45], v[92:95]// 000000003834: D3F3005C 1D725974
	v_mfma_f32_16x16x32_fp8_fp8 v[92:95], a[118:119], a[46:47], v[92:95]// 00000000383C: D3F3005C 1D725D76
	buffer_load_dword v61, s[20:23], 0 offen lds               // 000000003844: E0511000 8005003D
	s_add_u32 m0, 0x600, s48                                   // 00000000384C: 807C30FF 00000600
	v_mfma_f32_16x16x32_fp8_fp8 v[96:99], a[112:113], a[48:49], v[96:99]// 000000003854: D3F30060 1D826170
	v_mfma_f32_16x16x32_fp8_fp8 v[96:99], a[114:115], a[50:51], v[96:99]// 00000000385C: D3F30060 1D826572
	buffer_load_dword v62, s[20:23], 0 offen lds               // 000000003864: E0511000 8005003E
	s_add_u32 m0, 0x700, s48                                   // 00000000386C: 807C30FF 00000700
	v_mfma_f32_16x16x32_fp8_fp8 v[96:99], a[116:117], a[52:53], v[96:99]// 000000003874: D3F30060 1D826974
	v_mfma_f32_16x16x32_fp8_fp8 v[96:99], a[118:119], a[54:55], v[96:99]// 00000000387C: D3F30060 1D826D76
	buffer_load_dword v63, s[20:23], 0 offen lds               // 000000003884: E0511000 8005003F
	s_add_u32 m0, 0x800, s48                                   // 00000000388C: 807C30FF 00000800
	s_waitcnt vmcnt(12)                                        // 000000003894: BF8C0F7C
	v_mfma_f32_16x16x32_fp8_fp8 v[100:103], a[120:121], a[0:1], v[100:103]// 000000003898: D3F30064 1D920178
	v_mfma_f32_16x16x32_fp8_fp8 v[100:103], a[122:123], a[2:3], v[100:103]// 0000000038A0: D3F30064 1D92057A
	buffer_load_dword v64, s[20:23], 0 offen lds               // 0000000038A8: E0511000 80050040
	s_add_u32 m0, 0x900, s48                                   // 0000000038B0: 807C30FF 00000900
	v_mfma_f32_16x16x32_fp8_fp8 v[100:103], a[124:125], a[4:5], v[100:103]// 0000000038B8: D3F30064 1D92097C
	v_mfma_f32_16x16x32_fp8_fp8 v[100:103], a[126:127], a[6:7], v[100:103]// 0000000038C0: D3F30064 1D920D7E
	buffer_load_dword v65, s[20:23], 0 offen lds               // 0000000038C8: E0511000 80050041
	s_add_u32 m0, 0xa00, s48                                   // 0000000038D0: 807C30FF 00000A00
	v_mfma_f32_16x16x32_fp8_fp8 v[104:107], a[120:121], a[8:9], v[104:107]// 0000000038D8: D3F30068 1DA21178
	v_mfma_f32_16x16x32_fp8_fp8 v[104:107], a[122:123], a[10:11], v[104:107]// 0000000038E0: D3F30068 1DA2157A
	buffer_load_dword v66, s[20:23], 0 offen lds               // 0000000038E8: E0511000 80050042
	s_add_u32 m0, 0xb00, s48                                   // 0000000038F0: 807C30FF 00000B00
	v_mfma_f32_16x16x32_fp8_fp8 v[104:107], a[124:125], a[12:13], v[104:107]// 0000000038F8: D3F30068 1DA2197C
	v_mfma_f32_16x16x32_fp8_fp8 v[104:107], a[126:127], a[14:15], v[104:107]// 000000003900: D3F30068 1DA21D7E
	buffer_load_dword v67, s[20:23], 0 offen lds               // 000000003908: E0511000 80050043
	s_add_u32 m0, 0xc00, s48                                   // 000000003910: 807C30FF 00000C00
	v_mfma_f32_16x16x32_fp8_fp8 v[108:111], a[120:121], a[16:17], v[108:111]// 000000003918: D3F3006C 1DB22178
	v_mfma_f32_16x16x32_fp8_fp8 v[108:111], a[122:123], a[18:19], v[108:111]// 000000003920: D3F3006C 1DB2257A
	buffer_load_dword v68, s[20:23], 0 offen lds               // 000000003928: E0511000 80050044
	s_add_u32 m0, 0xd00, s48                                   // 000000003930: 807C30FF 00000D00
	v_mfma_f32_16x16x32_fp8_fp8 v[108:111], a[124:125], a[20:21], v[108:111]// 000000003938: D3F3006C 1DB2297C
	v_mfma_f32_16x16x32_fp8_fp8 v[108:111], a[126:127], a[22:23], v[108:111]// 000000003940: D3F3006C 1DB22D7E
	buffer_load_dword v69, s[20:23], 0 offen lds               // 000000003948: E0511000 80050045
	s_add_u32 m0, 0, s49                                       // 000000003950: 807C3180
	v_mfma_f32_16x16x32_fp8_fp8 v[112:115], a[120:121], a[24:25], v[112:115]// 000000003954: D3F30070 1DC23178
	v_mfma_f32_16x16x32_fp8_fp8 v[112:115], a[122:123], a[26:27], v[112:115]// 00000000395C: D3F30070 1DC2357A
	v_mfma_f32_16x16x32_fp8_fp8 v[112:115], a[124:125], a[28:29], v[112:115]// 000000003964: D3F30070 1DC2397C
	v_mfma_f32_16x16x32_fp8_fp8 v[112:115], a[126:127], a[30:31], v[112:115]// 00000000396C: D3F30070 1DC23D7E
	v_mfma_f32_16x16x32_fp8_fp8 v[116:119], a[120:121], a[32:33], v[116:119]// 000000003974: D3F30074 1DD24178
	v_mfma_f32_16x16x32_fp8_fp8 v[116:119], a[122:123], a[34:35], v[116:119]// 00000000397C: D3F30074 1DD2457A
	v_mfma_f32_16x16x32_fp8_fp8 v[116:119], a[124:125], a[36:37], v[116:119]// 000000003984: D3F30074 1DD2497C
	v_mfma_f32_16x16x32_fp8_fp8 v[116:119], a[126:127], a[38:39], v[116:119]// 00000000398C: D3F30074 1DD24D7E
	v_mfma_f32_16x16x32_fp8_fp8 v[120:123], a[120:121], a[40:41], v[120:123]// 000000003994: D3F30078 1DE25178
	v_mfma_f32_16x16x32_fp8_fp8 v[120:123], a[122:123], a[42:43], v[120:123]// 00000000399C: D3F30078 1DE2557A
	v_mfma_f32_16x16x32_fp8_fp8 v[120:123], a[124:125], a[44:45], v[120:123]// 0000000039A4: D3F30078 1DE2597C
	v_mfma_f32_16x16x32_fp8_fp8 v[120:123], a[126:127], a[46:47], v[120:123]// 0000000039AC: D3F30078 1DE25D7E
	v_mfma_f32_16x16x32_fp8_fp8 v[124:127], a[120:121], a[48:49], v[124:127]// 0000000039B4: D3F3007C 1DF26178
	v_mfma_f32_16x16x32_fp8_fp8 v[124:127], a[122:123], a[50:51], v[124:127]// 0000000039BC: D3F3007C 1DF2657A
	s_add_u32 s60, 0x80, s80                                   // 0000000039C4: 803C50FF 00000080
	s_cmp_lt_u32 s60, s81                                      // 0000000039CC: BF0A513C
	s_cselect_b32 s83, s83, 0                                  // 0000000039D0: 85538053
	v_mfma_f32_16x16x32_fp8_fp8 v[124:127], a[124:125], a[52:53], v[124:127]// 0000000039D4: D3F3007C 1DF2697C
	v_mfma_f32_16x16x32_fp8_fp8 v[124:127], a[126:127], a[54:55], v[124:127]// 0000000039DC: D3F3007C 1DF26D7E
	s_waitcnt vmcnt(14)                                        // 0000000039E4: BF8C0F7E
	v_mfma_f32_16x16x32_fp8_fp8 v[128:131], a[128:129], a[0:1], v[128:131]// 0000000039E8: D3F30080 1E020180
	v_mfma_f32_16x16x32_fp8_fp8 v[128:131], a[130:131], a[2:3], v[128:131]// 0000000039F0: D3F30080 1E020582
	buffer_load_dwordx4 a[112:115], v70, s[24:27], 0 offen     // 0000000039F8: E05C1000 80867046
	v_mfma_f32_16x16x32_fp8_fp8 v[128:131], a[132:133], a[4:5], v[128:131]// 000000003A00: D3F30080 1E020984
	v_mfma_f32_16x16x32_fp8_fp8 v[128:131], a[134:135], a[6:7], v[128:131]// 000000003A08: D3F30080 1E020D86
	ds_read_b128 a[56:59], v2 offset:14464                     // 000000003A10: DBFE3880 38000002
	ds_read_b128 a[60:63], v2 offset:14528                     // 000000003A18: DBFE38C0 3C000002
	v_mfma_f32_16x16x32_fp8_fp8 v[156:159], a[136:137], a[0:1], v[156:159]// 000000003A20: D3F3009C 1E720188
	v_mfma_f32_16x16x32_fp8_fp8 v[156:159], a[138:139], a[2:3], v[156:159]// 000000003A28: D3F3009C 1E72058A
	buffer_load_dwordx4 a[116:119], v70, s[24:27], 0 offen offset:1024// 000000003A30: E05C1400 80867446
	v_mfma_f32_16x16x32_fp8_fp8 v[156:159], a[140:141], a[4:5], v[156:159]// 000000003A38: D3F3009C 1E72098C
	v_mfma_f32_16x16x32_fp8_fp8 v[156:159], a[142:143], a[6:7], v[156:159]// 000000003A40: D3F3009C 1E720D8E
	ds_read_b128 a[64:67], v2 offset:14976                     // 000000003A48: DBFE3A80 40000002
	ds_read_b128 a[68:71], v2 offset:15040                     // 000000003A50: DBFE3AC0 44000002
	v_mfma_f32_16x16x32_fp8_fp8 v[132:135], a[128:129], a[8:9], v[132:135]// 000000003A58: D3F30084 1E121180
	v_mfma_f32_16x16x32_fp8_fp8 v[132:135], a[130:131], a[10:11], v[132:135]// 000000003A60: D3F30084 1E121582
	buffer_load_dwordx4 a[120:123], v71, s[24:27], 0 offen     // 000000003A68: E05C1000 80867847
	v_mfma_f32_16x16x32_fp8_fp8 v[132:135], a[132:133], a[12:13], v[132:135]// 000000003A70: D3F30084 1E121984
	v_mfma_f32_16x16x32_fp8_fp8 v[132:135], a[134:135], a[14:15], v[132:135]// 000000003A78: D3F30084 1E121D86
	ds_read_b128 a[72:75], v2 offset:15488                     // 000000003A80: DBFE3C80 48000002
	ds_read_b128 a[76:79], v2 offset:15552                     // 000000003A88: DBFE3CC0 4C000002
	v_mfma_f32_16x16x32_fp8_fp8 v[160:163], a[136:137], a[8:9], v[160:163]// 000000003A90: D3F300A0 1E821188
	v_mfma_f32_16x16x32_fp8_fp8 v[160:163], a[138:139], a[10:11], v[160:163]// 000000003A98: D3F300A0 1E82158A
	buffer_load_dwordx4 a[124:127], v71, s[24:27], 0 offen offset:1024// 000000003AA0: E05C1400 80867C47
	v_mfma_f32_16x16x32_fp8_fp8 v[160:163], a[140:141], a[12:13], v[160:163]// 000000003AA8: D3F300A0 1E82198C
	v_mfma_f32_16x16x32_fp8_fp8 v[160:163], a[142:143], a[14:15], v[160:163]// 000000003AB0: D3F300A0 1E821D8E
	ds_read_b128 a[80:83], v2 offset:16000                     // 000000003AB8: DBFE3E80 50000002
	ds_read_b128 a[84:87], v2 offset:16064                     // 000000003AC0: DBFE3EC0 54000002
	v_mfma_f32_16x16x32_fp8_fp8 v[136:139], a[128:129], a[16:17], v[136:139]// 000000003AC8: D3F30088 1E222180
	v_mfma_f32_16x16x32_fp8_fp8 v[136:139], a[130:131], a[18:19], v[136:139]// 000000003AD0: D3F30088 1E222582
	v_mfma_f32_16x16x32_fp8_fp8 v[136:139], a[132:133], a[20:21], v[136:139]// 000000003AD8: D3F30088 1E222984
	v_mfma_f32_16x16x32_fp8_fp8 v[136:139], a[134:135], a[22:23], v[136:139]// 000000003AE0: D3F30088 1E222D86
	ds_read_b128 a[88:91], v2 offset:16512                     // 000000003AE8: DBFE4080 58000002
	ds_read_b128 a[92:95], v2 offset:16576                     // 000000003AF0: DBFE40C0 5C000002
	v_mfma_f32_16x16x32_fp8_fp8 v[164:167], a[136:137], a[16:17], v[164:167]// 000000003AF8: D3F300A4 1E922188
	v_mfma_f32_16x16x32_fp8_fp8 v[164:167], a[138:139], a[18:19], v[164:167]// 000000003B00: D3F300A4 1E92258A
	v_mfma_f32_16x16x32_fp8_fp8 v[164:167], a[140:141], a[20:21], v[164:167]// 000000003B08: D3F300A4 1E92298C
	v_mfma_f32_16x16x32_fp8_fp8 v[164:167], a[142:143], a[22:23], v[164:167]// 000000003B10: D3F300A4 1E922D8E
	ds_read_b128 a[96:99], v2 offset:17024                     // 000000003B18: DBFE4280 60000002
	ds_read_b128 a[100:103], v2 offset:17088                   // 000000003B20: DBFE42C0 64000002
	v_mfma_f32_16x16x32_fp8_fp8 v[140:143], a[128:129], a[24:25], v[140:143]// 000000003B28: D3F3008C 1E323180
	v_mfma_f32_16x16x32_fp8_fp8 v[140:143], a[130:131], a[26:27], v[140:143]// 000000003B30: D3F3008C 1E323582
	v_mfma_f32_16x16x32_fp8_fp8 v[140:143], a[132:133], a[28:29], v[140:143]// 000000003B38: D3F3008C 1E323984
	v_mfma_f32_16x16x32_fp8_fp8 v[140:143], a[134:135], a[30:31], v[140:143]// 000000003B40: D3F3008C 1E323D86
	ds_read_b128 a[104:107], v2 offset:17536                   // 000000003B48: DBFE4480 68000002
	ds_read_b128 a[108:111], v2 offset:17600                   // 000000003B50: DBFE44C0 6C000002
	v_mfma_f32_16x16x32_fp8_fp8 v[168:171], a[136:137], a[24:25], v[168:171]// 000000003B58: D3F300A8 1EA23188
	v_mfma_f32_16x16x32_fp8_fp8 v[168:171], a[138:139], a[26:27], v[168:171]// 000000003B60: D3F300A8 1EA2358A
	v_mfma_f32_16x16x32_fp8_fp8 v[168:171], a[140:141], a[28:29], v[168:171]// 000000003B68: D3F300A8 1EA2398C
	v_mfma_f32_16x16x32_fp8_fp8 v[168:171], a[142:143], a[30:31], v[168:171]// 000000003B70: D3F300A8 1EA23D8E
	v_mfma_f32_16x16x32_fp8_fp8 v[144:147], a[128:129], a[32:33], v[144:147]// 000000003B78: D3F30090 1E424180
	v_mfma_f32_16x16x32_fp8_fp8 v[144:147], a[130:131], a[34:35], v[144:147]// 000000003B80: D3F30090 1E424582
	v_mfma_f32_16x16x32_fp8_fp8 v[144:147], a[132:133], a[36:37], v[144:147]// 000000003B88: D3F30090 1E424984
	v_mfma_f32_16x16x32_fp8_fp8 v[144:147], a[134:135], a[38:39], v[144:147]// 000000003B90: D3F30090 1E424D86
	v_mfma_f32_16x16x32_fp8_fp8 v[172:175], a[136:137], a[32:33], v[172:175]// 000000003B98: D3F300AC 1EB24188
	v_mfma_f32_16x16x32_fp8_fp8 v[172:175], a[138:139], a[34:35], v[172:175]// 000000003BA0: D3F300AC 1EB2458A
	v_mfma_f32_16x16x32_fp8_fp8 v[172:175], a[140:141], a[36:37], v[172:175]// 000000003BA8: D3F300AC 1EB2498C
	v_mfma_f32_16x16x32_fp8_fp8 v[172:175], a[142:143], a[38:39], v[172:175]// 000000003BB0: D3F300AC 1EB24D8E
	v_mfma_f32_16x16x32_fp8_fp8 v[148:151], a[128:129], a[40:41], v[148:151]// 000000003BB8: D3F30094 1E525180
	v_mfma_f32_16x16x32_fp8_fp8 v[148:151], a[130:131], a[42:43], v[148:151]// 000000003BC0: D3F30094 1E525582
	v_mfma_f32_16x16x32_fp8_fp8 v[148:151], a[132:133], a[44:45], v[148:151]// 000000003BC8: D3F30094 1E525984
	v_mfma_f32_16x16x32_fp8_fp8 v[148:151], a[134:135], a[46:47], v[148:151]// 000000003BD0: D3F30094 1E525D86
	v_mfma_f32_16x16x32_fp8_fp8 v[176:179], a[136:137], a[40:41], v[176:179]// 000000003BD8: D3F300B0 1EC25188
	v_mfma_f32_16x16x32_fp8_fp8 v[176:179], a[138:139], a[42:43], v[176:179]// 000000003BE0: D3F300B0 1EC2558A
	v_mfma_f32_16x16x32_fp8_fp8 v[176:179], a[140:141], a[44:45], v[176:179]// 000000003BE8: D3F300B0 1EC2598C
	v_mfma_f32_16x16x32_fp8_fp8 v[176:179], a[142:143], a[46:47], v[176:179]// 000000003BF0: D3F300B0 1EC25D8E
	v_mfma_f32_16x16x32_fp8_fp8 v[152:155], a[128:129], a[48:49], v[152:155]// 000000003BF8: D3F30098 1E626180
	v_mfma_f32_16x16x32_fp8_fp8 v[152:155], a[130:131], a[50:51], v[152:155]// 000000003C00: D3F30098 1E626582
	v_mfma_f32_16x16x32_fp8_fp8 v[152:155], a[132:133], a[52:53], v[152:155]// 000000003C08: D3F30098 1E626984
	s_add_u32 s60, 0x180, s80                                  // 000000003C10: 803C50FF 00000180
	s_cmp_lt_u32 s60, s81                                      // 000000003C18: BF0A513C
	s_cselect_b32 s57, s57, 0                                  // 000000003C1C: 85398039
	v_mfma_f32_16x16x32_fp8_fp8 v[152:155], a[134:135], a[54:55], v[152:155]// 000000003C20: D3F30098 1E626D86
	s_add_u32 s60, 0x100, s80                                  // 000000003C28: 803C50FF 00000100
	s_cmp_lt_u32 s60, s81                                      // 000000003C30: BF0A513C
	s_cselect_b32 s58, s58, 0                                  // 000000003C34: 853A803A
	v_mfma_f32_16x16x32_fp8_fp8 v[180:183], a[136:137], a[48:49], v[180:183]// 000000003C38: D3F300B4 1ED26188
	s_add_u32 s24, s58, s24                                    // 000000003C40: 8018183A
	s_addc_u32 s25, 0, s25                                     // 000000003C44: 82191980
	v_mfma_f32_16x16x32_fp8_fp8 v[180:183], a[138:139], a[50:51], v[180:183]// 000000003C48: D3F300B4 1ED2658A
	s_add_u32 s20, s57, s20                                    // 000000003C50: 80141439
	s_addc_u32 s21, 0, s21                                     // 000000003C54: 82151580
	v_mfma_f32_16x16x32_fp8_fp8 v[180:183], a[140:141], a[52:53], v[180:183]// 000000003C58: D3F300B4 1ED2698C
	s_add_u32 s84, s83, s84                                    // 000000003C60: 80545453
	s_addc_u32 s85, 0, s85                                     // 000000003C64: 82555580
	v_mfma_f32_16x16x32_fp8_fp8 v[180:183], a[142:143], a[54:55], v[180:183]// 000000003C68: D3F300B4 1ED26D8E
	s_addk_i32 s80, 0x80                                       // 000000003C70: B7500080
	s_cmp_lt_i32 s80, s81                                      // 000000003C74: BF045150
	s_cbranch_scc0 label_05FC                                  // 000000003C78: BF84015D
	s_waitcnt vmcnt(2) lgkmcnt(0)                              // 000000003C7C: BF8C0072
	s_barrier                                                  // 000000003C80: BF8A0000
	v_mfma_f32_16x16x32_fp8_fp8 v[72:75], a[112:113], a[56:57], v[72:75]// 000000003C84: D3F30048 1D227170
	v_mfma_f32_16x16x32_fp8_fp8 v[72:75], a[114:115], a[58:59], v[72:75]// 000000003C8C: D3F30048 1D227572
	buffer_load_dwordx4 a[128:131], v70, s[84:87], 0 offen     // 000000003C94: E05C1000 80958046
	v_mfma_f32_16x16x32_fp8_fp8 v[72:75], a[116:117], a[60:61], v[72:75]// 000000003C9C: D3F30048 1D227974
	v_mfma_f32_16x16x32_fp8_fp8 v[72:75], a[118:119], a[62:63], v[72:75]// 000000003CA4: D3F30048 1D227D76
	v_mfma_f32_16x16x32_fp8_fp8 v[76:79], a[112:113], a[64:65], v[76:79]// 000000003CAC: D3F3004C 1D328170
	v_mfma_f32_16x16x32_fp8_fp8 v[76:79], a[114:115], a[66:67], v[76:79]// 000000003CB4: D3F3004C 1D328572
	buffer_load_dwordx4 a[132:135], v70, s[84:87], 0 offen offset:1024// 000000003CBC: E05C1400 80958446
	v_mfma_f32_16x16x32_fp8_fp8 v[76:79], a[116:117], a[68:69], v[76:79]// 000000003CC4: D3F3004C 1D328974
	v_mfma_f32_16x16x32_fp8_fp8 v[76:79], a[118:119], a[70:71], v[76:79]// 000000003CCC: D3F3004C 1D328D76
	v_mfma_f32_16x16x32_fp8_fp8 v[80:83], a[112:113], a[72:73], v[80:83]// 000000003CD4: D3F30050 1D429170
	v_mfma_f32_16x16x32_fp8_fp8 v[80:83], a[114:115], a[74:75], v[80:83]// 000000003CDC: D3F30050 1D429572
	buffer_load_dwordx4 a[136:139], v71, s[84:87], 0 offen     // 000000003CE4: E05C1000 80958847
	v_mfma_f32_16x16x32_fp8_fp8 v[80:83], a[116:117], a[76:77], v[80:83]// 000000003CEC: D3F30050 1D429974
	v_mfma_f32_16x16x32_fp8_fp8 v[80:83], a[118:119], a[78:79], v[80:83]// 000000003CF4: D3F30050 1D429D76
	v_mfma_f32_16x16x32_fp8_fp8 v[84:87], a[112:113], a[80:81], v[84:87]// 000000003CFC: D3F30054 1D52A170
	v_mfma_f32_16x16x32_fp8_fp8 v[84:87], a[114:115], a[82:83], v[84:87]// 000000003D04: D3F30054 1D52A572
	buffer_load_dwordx4 a[140:143], v71, s[84:87], 0 offen offset:1024// 000000003D0C: E05C1400 80958C47
	buffer_load_dword v56, s[20:23], 0 offen lds               // 000000003D14: E0511000 80050038
	s_add_u32 m0, 0x100, s49                                   // 000000003D1C: 807C31FF 00000100
	v_mfma_f32_16x16x32_fp8_fp8 v[84:87], a[116:117], a[84:85], v[84:87]// 000000003D24: D3F30054 1D52A974
	v_mfma_f32_16x16x32_fp8_fp8 v[84:87], a[118:119], a[86:87], v[84:87]// 000000003D2C: D3F30054 1D52AD76
	buffer_load_dword v57, s[20:23], 0 offen lds               // 000000003D34: E0511000 80050039
	s_add_u32 m0, 0x200, s49                                   // 000000003D3C: 807C31FF 00000200
	v_mfma_f32_16x16x32_fp8_fp8 v[88:91], a[112:113], a[88:89], v[88:91]// 000000003D44: D3F30058 1D62B170
	v_mfma_f32_16x16x32_fp8_fp8 v[88:91], a[114:115], a[90:91], v[88:91]// 000000003D4C: D3F30058 1D62B572
	buffer_load_dword v58, s[20:23], 0 offen lds               // 000000003D54: E0511000 8005003A
	s_add_u32 m0, 0x300, s49                                   // 000000003D5C: 807C31FF 00000300
	v_mfma_f32_16x16x32_fp8_fp8 v[88:91], a[116:117], a[92:93], v[88:91]// 000000003D64: D3F30058 1D62B974
	v_mfma_f32_16x16x32_fp8_fp8 v[88:91], a[118:119], a[94:95], v[88:91]// 000000003D6C: D3F30058 1D62BD76
	buffer_load_dword v59, s[20:23], 0 offen lds               // 000000003D74: E0511000 8005003B
	s_add_u32 m0, 0x400, s49                                   // 000000003D7C: 807C31FF 00000400
	v_mfma_f32_16x16x32_fp8_fp8 v[92:95], a[112:113], a[96:97], v[92:95]// 000000003D84: D3F3005C 1D72C170
	v_mfma_f32_16x16x32_fp8_fp8 v[92:95], a[114:115], a[98:99], v[92:95]// 000000003D8C: D3F3005C 1D72C572
	buffer_load_dword v60, s[20:23], 0 offen lds               // 000000003D94: E0511000 8005003C
	s_add_u32 m0, 0x500, s49                                   // 000000003D9C: 807C31FF 00000500
	v_mfma_f32_16x16x32_fp8_fp8 v[92:95], a[116:117], a[100:101], v[92:95]// 000000003DA4: D3F3005C 1D72C974
	v_mfma_f32_16x16x32_fp8_fp8 v[92:95], a[118:119], a[102:103], v[92:95]// 000000003DAC: D3F3005C 1D72CD76
	buffer_load_dword v61, s[20:23], 0 offen lds               // 000000003DB4: E0511000 8005003D
	s_add_u32 m0, 0x600, s49                                   // 000000003DBC: 807C31FF 00000600
	v_mfma_f32_16x16x32_fp8_fp8 v[96:99], a[112:113], a[104:105], v[96:99]// 000000003DC4: D3F30060 1D82D170
	v_mfma_f32_16x16x32_fp8_fp8 v[96:99], a[114:115], a[106:107], v[96:99]// 000000003DCC: D3F30060 1D82D572
	buffer_load_dword v62, s[20:23], 0 offen lds               // 000000003DD4: E0511000 8005003E
	s_add_u32 m0, 0x700, s49                                   // 000000003DDC: 807C31FF 00000700
	v_mfma_f32_16x16x32_fp8_fp8 v[96:99], a[116:117], a[108:109], v[96:99]// 000000003DE4: D3F30060 1D82D974
	v_mfma_f32_16x16x32_fp8_fp8 v[96:99], a[118:119], a[110:111], v[96:99]// 000000003DEC: D3F30060 1D82DD76
	buffer_load_dword v63, s[20:23], 0 offen lds               // 000000003DF4: E0511000 8005003F
	s_add_u32 m0, 0x800, s49                                   // 000000003DFC: 807C31FF 00000800
	s_waitcnt vmcnt(12)                                        // 000000003E04: BF8C0F7C
	v_mfma_f32_16x16x32_fp8_fp8 v[100:103], a[120:121], a[56:57], v[100:103]// 000000003E08: D3F30064 1D927178
	v_mfma_f32_16x16x32_fp8_fp8 v[100:103], a[122:123], a[58:59], v[100:103]// 000000003E10: D3F30064 1D92757A
	buffer_load_dword v64, s[20:23], 0 offen lds               // 000000003E18: E0511000 80050040
	s_add_u32 m0, 0x900, s49                                   // 000000003E20: 807C31FF 00000900
	v_mfma_f32_16x16x32_fp8_fp8 v[100:103], a[124:125], a[60:61], v[100:103]// 000000003E28: D3F30064 1D92797C
	v_mfma_f32_16x16x32_fp8_fp8 v[100:103], a[126:127], a[62:63], v[100:103]// 000000003E30: D3F30064 1D927D7E
	buffer_load_dword v65, s[20:23], 0 offen lds               // 000000003E38: E0511000 80050041
	s_add_u32 m0, 0xa00, s49                                   // 000000003E40: 807C31FF 00000A00
	v_mfma_f32_16x16x32_fp8_fp8 v[104:107], a[120:121], a[64:65], v[104:107]// 000000003E48: D3F30068 1DA28178
	v_mfma_f32_16x16x32_fp8_fp8 v[104:107], a[122:123], a[66:67], v[104:107]// 000000003E50: D3F30068 1DA2857A
	buffer_load_dword v66, s[20:23], 0 offen lds               // 000000003E58: E0511000 80050042
	s_add_u32 m0, 0xb00, s49                                   // 000000003E60: 807C31FF 00000B00
	v_mfma_f32_16x16x32_fp8_fp8 v[104:107], a[124:125], a[68:69], v[104:107]// 000000003E68: D3F30068 1DA2897C
	v_mfma_f32_16x16x32_fp8_fp8 v[104:107], a[126:127], a[70:71], v[104:107]// 000000003E70: D3F30068 1DA28D7E
	buffer_load_dword v67, s[20:23], 0 offen lds               // 000000003E78: E0511000 80050043
	s_add_u32 m0, 0xc00, s49                                   // 000000003E80: 807C31FF 00000C00
	v_mfma_f32_16x16x32_fp8_fp8 v[108:111], a[120:121], a[72:73], v[108:111]// 000000003E88: D3F3006C 1DB29178
	v_mfma_f32_16x16x32_fp8_fp8 v[108:111], a[122:123], a[74:75], v[108:111]// 000000003E90: D3F3006C 1DB2957A
	buffer_load_dword v68, s[20:23], 0 offen lds               // 000000003E98: E0511000 80050044
	s_add_u32 m0, 0xd00, s49                                   // 000000003EA0: 807C31FF 00000D00
	v_mfma_f32_16x16x32_fp8_fp8 v[108:111], a[124:125], a[76:77], v[108:111]// 000000003EA8: D3F3006C 1DB2997C
	v_mfma_f32_16x16x32_fp8_fp8 v[108:111], a[126:127], a[78:79], v[108:111]// 000000003EB0: D3F3006C 1DB29D7E
	buffer_load_dword v69, s[20:23], 0 offen lds               // 000000003EB8: E0511000 80050045
	s_add_u32 m0, 0, s48                                       // 000000003EC0: 807C3080
	v_mfma_f32_16x16x32_fp8_fp8 v[112:115], a[120:121], a[80:81], v[112:115]// 000000003EC4: D3F30070 1DC2A178
	v_mfma_f32_16x16x32_fp8_fp8 v[112:115], a[122:123], a[82:83], v[112:115]// 000000003ECC: D3F30070 1DC2A57A
	v_mfma_f32_16x16x32_fp8_fp8 v[112:115], a[124:125], a[84:85], v[112:115]// 000000003ED4: D3F30070 1DC2A97C
	v_mfma_f32_16x16x32_fp8_fp8 v[112:115], a[126:127], a[86:87], v[112:115]// 000000003EDC: D3F30070 1DC2AD7E
	v_mfma_f32_16x16x32_fp8_fp8 v[116:119], a[120:121], a[88:89], v[116:119]// 000000003EE4: D3F30074 1DD2B178
	v_mfma_f32_16x16x32_fp8_fp8 v[116:119], a[122:123], a[90:91], v[116:119]// 000000003EEC: D3F30074 1DD2B57A
	v_mfma_f32_16x16x32_fp8_fp8 v[116:119], a[124:125], a[92:93], v[116:119]// 000000003EF4: D3F30074 1DD2B97C
	v_mfma_f32_16x16x32_fp8_fp8 v[116:119], a[126:127], a[94:95], v[116:119]// 000000003EFC: D3F30074 1DD2BD7E
	v_mfma_f32_16x16x32_fp8_fp8 v[120:123], a[120:121], a[96:97], v[120:123]// 000000003F04: D3F30078 1DE2C178
	v_mfma_f32_16x16x32_fp8_fp8 v[120:123], a[122:123], a[98:99], v[120:123]// 000000003F0C: D3F30078 1DE2C57A
	v_mfma_f32_16x16x32_fp8_fp8 v[120:123], a[124:125], a[100:101], v[120:123]// 000000003F14: D3F30078 1DE2C97C
	v_mfma_f32_16x16x32_fp8_fp8 v[120:123], a[126:127], a[102:103], v[120:123]// 000000003F1C: D3F30078 1DE2CD7E
	v_mfma_f32_16x16x32_fp8_fp8 v[124:127], a[120:121], a[104:105], v[124:127]// 000000003F24: D3F3007C 1DF2D178
	v_mfma_f32_16x16x32_fp8_fp8 v[124:127], a[122:123], a[106:107], v[124:127]// 000000003F2C: D3F3007C 1DF2D57A
	s_add_u32 s60, 0x80, s80                                   // 000000003F34: 803C50FF 00000080
	s_cmp_lt_u32 s60, s81                                      // 000000003F3C: BF0A513C
	s_cselect_b32 s83, s83, 0                                  // 000000003F40: 85538053
	v_mfma_f32_16x16x32_fp8_fp8 v[124:127], a[124:125], a[108:109], v[124:127]// 000000003F44: D3F3007C 1DF2D97C
	v_mfma_f32_16x16x32_fp8_fp8 v[124:127], a[126:127], a[110:111], v[124:127]// 000000003F4C: D3F3007C 1DF2DD7E
	s_waitcnt vmcnt(14)                                        // 000000003F54: BF8C0F7E
	v_mfma_f32_16x16x32_fp8_fp8 v[128:131], a[128:129], a[56:57], v[128:131]// 000000003F58: D3F30080 1E027180
	v_mfma_f32_16x16x32_fp8_fp8 v[128:131], a[130:131], a[58:59], v[128:131]// 000000003F60: D3F30080 1E027582
	buffer_load_dwordx4 a[112:115], v70, s[24:27], 0 offen     // 000000003F68: E05C1000 80867046
	v_mfma_f32_16x16x32_fp8_fp8 v[128:131], a[132:133], a[60:61], v[128:131]// 000000003F70: D3F30080 1E027984
	v_mfma_f32_16x16x32_fp8_fp8 v[128:131], a[134:135], a[62:63], v[128:131]// 000000003F78: D3F30080 1E027D86
	ds_read_b128 a[0:3], v2                                    // 000000003F80: DBFE0000 00000002
	ds_read_b128 a[4:7], v2 offset:64                          // 000000003F88: DBFE0040 04000002
	v_mfma_f32_16x16x32_fp8_fp8 v[156:159], a[136:137], a[56:57], v[156:159]// 000000003F90: D3F3009C 1E727188
	v_mfma_f32_16x16x32_fp8_fp8 v[156:159], a[138:139], a[58:59], v[156:159]// 000000003F98: D3F3009C 1E72758A
	buffer_load_dwordx4 a[116:119], v70, s[24:27], 0 offen offset:1024// 000000003FA0: E05C1400 80867446
	v_mfma_f32_16x16x32_fp8_fp8 v[156:159], a[140:141], a[60:61], v[156:159]// 000000003FA8: D3F3009C 1E72798C
	v_mfma_f32_16x16x32_fp8_fp8 v[156:159], a[142:143], a[62:63], v[156:159]// 000000003FB0: D3F3009C 1E727D8E
	ds_read_b128 a[8:11], v2 offset:512                        // 000000003FB8: DBFE0200 08000002
	ds_read_b128 a[12:15], v2 offset:576                       // 000000003FC0: DBFE0240 0C000002
	v_mfma_f32_16x16x32_fp8_fp8 v[132:135], a[128:129], a[64:65], v[132:135]// 000000003FC8: D3F30084 1E128180
	v_mfma_f32_16x16x32_fp8_fp8 v[132:135], a[130:131], a[66:67], v[132:135]// 000000003FD0: D3F30084 1E128582
	buffer_load_dwordx4 a[120:123], v71, s[24:27], 0 offen     // 000000003FD8: E05C1000 80867847
	v_mfma_f32_16x16x32_fp8_fp8 v[132:135], a[132:133], a[68:69], v[132:135]// 000000003FE0: D3F30084 1E128984
	v_mfma_f32_16x16x32_fp8_fp8 v[132:135], a[134:135], a[70:71], v[132:135]// 000000003FE8: D3F30084 1E128D86
	ds_read_b128 a[16:19], v2 offset:1024                      // 000000003FF0: DBFE0400 10000002
	ds_read_b128 a[20:23], v2 offset:1088                      // 000000003FF8: DBFE0440 14000002
	v_mfma_f32_16x16x32_fp8_fp8 v[160:163], a[136:137], a[64:65], v[160:163]// 000000004000: D3F300A0 1E828188
	v_mfma_f32_16x16x32_fp8_fp8 v[160:163], a[138:139], a[66:67], v[160:163]// 000000004008: D3F300A0 1E82858A
	buffer_load_dwordx4 a[124:127], v71, s[24:27], 0 offen offset:1024// 000000004010: E05C1400 80867C47
	v_mfma_f32_16x16x32_fp8_fp8 v[160:163], a[140:141], a[68:69], v[160:163]// 000000004018: D3F300A0 1E82898C
	v_mfma_f32_16x16x32_fp8_fp8 v[160:163], a[142:143], a[70:71], v[160:163]// 000000004020: D3F300A0 1E828D8E
	ds_read_b128 a[24:27], v2 offset:1536                      // 000000004028: DBFE0600 18000002
	ds_read_b128 a[28:31], v2 offset:1600                      // 000000004030: DBFE0640 1C000002
	v_mfma_f32_16x16x32_fp8_fp8 v[136:139], a[128:129], a[72:73], v[136:139]// 000000004038: D3F30088 1E229180
	v_mfma_f32_16x16x32_fp8_fp8 v[136:139], a[130:131], a[74:75], v[136:139]// 000000004040: D3F30088 1E229582
	v_mfma_f32_16x16x32_fp8_fp8 v[136:139], a[132:133], a[76:77], v[136:139]// 000000004048: D3F30088 1E229984
	v_mfma_f32_16x16x32_fp8_fp8 v[136:139], a[134:135], a[78:79], v[136:139]// 000000004050: D3F30088 1E229D86
	ds_read_b128 a[32:35], v2 offset:2048                      // 000000004058: DBFE0800 20000002
	ds_read_b128 a[36:39], v2 offset:2112                      // 000000004060: DBFE0840 24000002
	v_mfma_f32_16x16x32_fp8_fp8 v[164:167], a[136:137], a[72:73], v[164:167]// 000000004068: D3F300A4 1E929188
	v_mfma_f32_16x16x32_fp8_fp8 v[164:167], a[138:139], a[74:75], v[164:167]// 000000004070: D3F300A4 1E92958A
	v_mfma_f32_16x16x32_fp8_fp8 v[164:167], a[140:141], a[76:77], v[164:167]// 000000004078: D3F300A4 1E92998C
	v_mfma_f32_16x16x32_fp8_fp8 v[164:167], a[142:143], a[78:79], v[164:167]// 000000004080: D3F300A4 1E929D8E
	ds_read_b128 a[40:43], v2 offset:2560                      // 000000004088: DBFE0A00 28000002
	ds_read_b128 a[44:47], v2 offset:2624                      // 000000004090: DBFE0A40 2C000002
	v_mfma_f32_16x16x32_fp8_fp8 v[140:143], a[128:129], a[80:81], v[140:143]// 000000004098: D3F3008C 1E32A180
	v_mfma_f32_16x16x32_fp8_fp8 v[140:143], a[130:131], a[82:83], v[140:143]// 0000000040A0: D3F3008C 1E32A582
	v_mfma_f32_16x16x32_fp8_fp8 v[140:143], a[132:133], a[84:85], v[140:143]// 0000000040A8: D3F3008C 1E32A984
	v_mfma_f32_16x16x32_fp8_fp8 v[140:143], a[134:135], a[86:87], v[140:143]// 0000000040B0: D3F3008C 1E32AD86
	ds_read_b128 a[48:51], v2 offset:3072                      // 0000000040B8: DBFE0C00 30000002
	ds_read_b128 a[52:55], v2 offset:3136                      // 0000000040C0: DBFE0C40 34000002
	v_mfma_f32_16x16x32_fp8_fp8 v[168:171], a[136:137], a[80:81], v[168:171]// 0000000040C8: D3F300A8 1EA2A188
	v_mfma_f32_16x16x32_fp8_fp8 v[168:171], a[138:139], a[82:83], v[168:171]// 0000000040D0: D3F300A8 1EA2A58A
	v_mfma_f32_16x16x32_fp8_fp8 v[168:171], a[140:141], a[84:85], v[168:171]// 0000000040D8: D3F300A8 1EA2A98C
	v_mfma_f32_16x16x32_fp8_fp8 v[168:171], a[142:143], a[86:87], v[168:171]// 0000000040E0: D3F300A8 1EA2AD8E
	v_mfma_f32_16x16x32_fp8_fp8 v[144:147], a[128:129], a[88:89], v[144:147]// 0000000040E8: D3F30090 1E42B180
	v_mfma_f32_16x16x32_fp8_fp8 v[144:147], a[130:131], a[90:91], v[144:147]// 0000000040F0: D3F30090 1E42B582
	v_mfma_f32_16x16x32_fp8_fp8 v[144:147], a[132:133], a[92:93], v[144:147]// 0000000040F8: D3F30090 1E42B984
	v_mfma_f32_16x16x32_fp8_fp8 v[144:147], a[134:135], a[94:95], v[144:147]// 000000004100: D3F30090 1E42BD86
	v_mfma_f32_16x16x32_fp8_fp8 v[172:175], a[136:137], a[88:89], v[172:175]// 000000004108: D3F300AC 1EB2B188
	v_mfma_f32_16x16x32_fp8_fp8 v[172:175], a[138:139], a[90:91], v[172:175]// 000000004110: D3F300AC 1EB2B58A
	v_mfma_f32_16x16x32_fp8_fp8 v[172:175], a[140:141], a[92:93], v[172:175]// 000000004118: D3F300AC 1EB2B98C
	v_mfma_f32_16x16x32_fp8_fp8 v[172:175], a[142:143], a[94:95], v[172:175]// 000000004120: D3F300AC 1EB2BD8E
	v_mfma_f32_16x16x32_fp8_fp8 v[148:151], a[128:129], a[96:97], v[148:151]// 000000004128: D3F30094 1E52C180
	v_mfma_f32_16x16x32_fp8_fp8 v[148:151], a[130:131], a[98:99], v[148:151]// 000000004130: D3F30094 1E52C582
	v_mfma_f32_16x16x32_fp8_fp8 v[148:151], a[132:133], a[100:101], v[148:151]// 000000004138: D3F30094 1E52C984
	v_mfma_f32_16x16x32_fp8_fp8 v[148:151], a[134:135], a[102:103], v[148:151]// 000000004140: D3F30094 1E52CD86
	v_mfma_f32_16x16x32_fp8_fp8 v[176:179], a[136:137], a[96:97], v[176:179]// 000000004148: D3F300B0 1EC2C188
	v_mfma_f32_16x16x32_fp8_fp8 v[176:179], a[138:139], a[98:99], v[176:179]// 000000004150: D3F300B0 1EC2C58A
	v_mfma_f32_16x16x32_fp8_fp8 v[176:179], a[140:141], a[100:101], v[176:179]// 000000004158: D3F300B0 1EC2C98C
	v_mfma_f32_16x16x32_fp8_fp8 v[176:179], a[142:143], a[102:103], v[176:179]// 000000004160: D3F300B0 1EC2CD8E
	v_mfma_f32_16x16x32_fp8_fp8 v[152:155], a[128:129], a[104:105], v[152:155]// 000000004168: D3F30098 1E62D180
	v_mfma_f32_16x16x32_fp8_fp8 v[152:155], a[130:131], a[106:107], v[152:155]// 000000004170: D3F30098 1E62D582
	v_mfma_f32_16x16x32_fp8_fp8 v[152:155], a[132:133], a[108:109], v[152:155]// 000000004178: D3F30098 1E62D984
	s_add_u32 s60, 0x180, s80                                  // 000000004180: 803C50FF 00000180
	s_cmp_lt_u32 s60, s81                                      // 000000004188: BF0A513C
	s_cselect_b32 s57, s57, 0                                  // 00000000418C: 85398039
	v_mfma_f32_16x16x32_fp8_fp8 v[152:155], a[134:135], a[110:111], v[152:155]// 000000004190: D3F30098 1E62DD86
	s_add_u32 s60, 0x100, s80                                  // 000000004198: 803C50FF 00000100
	s_cmp_lt_u32 s60, s81                                      // 0000000041A0: BF0A513C
	s_cselect_b32 s58, s58, 0                                  // 0000000041A4: 853A803A
	v_mfma_f32_16x16x32_fp8_fp8 v[180:183], a[136:137], a[104:105], v[180:183]// 0000000041A8: D3F300B4 1ED2D188
	s_add_u32 s24, s58, s24                                    // 0000000041B0: 8018183A
	s_addc_u32 s25, 0, s25                                     // 0000000041B4: 82191980
	v_mfma_f32_16x16x32_fp8_fp8 v[180:183], a[138:139], a[106:107], v[180:183]// 0000000041B8: D3F300B4 1ED2D58A
	s_add_u32 s20, s57, s20                                    // 0000000041C0: 80141439
	s_addc_u32 s21, 0, s21                                     // 0000000041C4: 82151580
	v_mfma_f32_16x16x32_fp8_fp8 v[180:183], a[140:141], a[108:109], v[180:183]// 0000000041C8: D3F300B4 1ED2D98C
	s_add_u32 s84, s83, s84                                    // 0000000041D0: 80545453
	s_addc_u32 s85, 0, s85                                     // 0000000041D4: 82555580
	v_mfma_f32_16x16x32_fp8_fp8 v[180:183], a[142:143], a[110:111], v[180:183]// 0000000041D8: D3F300B4 1ED2DD8E
	s_addk_i32 s80, 0x80                                       // 0000000041E0: B7500080
	s_cmp_lt_i32 s80, s81                                      // 0000000041E4: BF045150
	s_cbranch_scc0 label_05FC                                  // 0000000041E8: BF840001
	s_branch label_0343                                        // 0000000041EC: BF82FD47

00000000000041f0 <label_05FC>:
	v_mul_f32_dpp v72, v24, v72 row_newbcast:0 row_mask:0xf bank_mask:0xf// 0000000041F0: 0A9090FA FF015018
	v_mul_f32_dpp v73, v24, v73 row_newbcast:1 row_mask:0xf bank_mask:0xf// 0000000041F8: 0A9292FA FF015118
	v_mul_f32_dpp v74, v24, v74 row_newbcast:2 row_mask:0xf bank_mask:0xf// 000000004200: 0A9494FA FF015218
	v_mul_f32_dpp v75, v24, v75 row_newbcast:3 row_mask:0xf bank_mask:0xf// 000000004208: 0A9696FA FF015318
	v_mul_f32_dpp v76, v24, v76 row_newbcast:0 row_mask:0xf bank_mask:0xf// 000000004210: 0A9898FA FF015018
	v_mul_f32_dpp v77, v24, v77 row_newbcast:1 row_mask:0xf bank_mask:0xf// 000000004218: 0A9A9AFA FF015118
	v_mul_f32_dpp v78, v24, v78 row_newbcast:2 row_mask:0xf bank_mask:0xf// 000000004220: 0A9C9CFA FF015218
	v_mul_f32_dpp v79, v24, v79 row_newbcast:3 row_mask:0xf bank_mask:0xf// 000000004228: 0A9E9EFA FF015318
	v_mul_f32_dpp v80, v24, v80 row_newbcast:0 row_mask:0xf bank_mask:0xf// 000000004230: 0AA0A0FA FF015018
	v_mul_f32_dpp v81, v24, v81 row_newbcast:1 row_mask:0xf bank_mask:0xf// 000000004238: 0AA2A2FA FF015118
	v_mul_f32_dpp v82, v24, v82 row_newbcast:2 row_mask:0xf bank_mask:0xf// 000000004240: 0AA4A4FA FF015218
	v_mul_f32_dpp v83, v24, v83 row_newbcast:3 row_mask:0xf bank_mask:0xf// 000000004248: 0AA6A6FA FF015318
	v_mul_f32_dpp v84, v24, v84 row_newbcast:0 row_mask:0xf bank_mask:0xf// 000000004250: 0AA8A8FA FF015018
	v_mul_f32_dpp v85, v24, v85 row_newbcast:1 row_mask:0xf bank_mask:0xf// 000000004258: 0AAAAAFA FF015118
	v_mul_f32_dpp v86, v24, v86 row_newbcast:2 row_mask:0xf bank_mask:0xf// 000000004260: 0AACACFA FF015218
	v_mul_f32_dpp v87, v24, v87 row_newbcast:3 row_mask:0xf bank_mask:0xf// 000000004268: 0AAEAEFA FF015318
	v_mul_f32_dpp v88, v24, v88 row_newbcast:0 row_mask:0xf bank_mask:0xf// 000000004270: 0AB0B0FA FF015018
	v_mul_f32_dpp v89, v24, v89 row_newbcast:1 row_mask:0xf bank_mask:0xf// 000000004278: 0AB2B2FA FF015118
	v_mul_f32_dpp v90, v24, v90 row_newbcast:2 row_mask:0xf bank_mask:0xf// 000000004280: 0AB4B4FA FF015218
	v_mul_f32_dpp v91, v24, v91 row_newbcast:3 row_mask:0xf bank_mask:0xf// 000000004288: 0AB6B6FA FF015318
	v_mul_f32_dpp v92, v24, v92 row_newbcast:0 row_mask:0xf bank_mask:0xf// 000000004290: 0AB8B8FA FF015018
	v_mul_f32_dpp v93, v24, v93 row_newbcast:1 row_mask:0xf bank_mask:0xf// 000000004298: 0ABABAFA FF015118
	v_mul_f32_dpp v94, v24, v94 row_newbcast:2 row_mask:0xf bank_mask:0xf// 0000000042A0: 0ABCBCFA FF015218
	v_mul_f32_dpp v95, v24, v95 row_newbcast:3 row_mask:0xf bank_mask:0xf// 0000000042A8: 0ABEBEFA FF015318
	v_mul_f32_dpp v96, v24, v96 row_newbcast:0 row_mask:0xf bank_mask:0xf// 0000000042B0: 0AC0C0FA FF015018
	v_mul_f32_dpp v97, v24, v97 row_newbcast:1 row_mask:0xf bank_mask:0xf// 0000000042B8: 0AC2C2FA FF015118
	v_mul_f32_dpp v98, v24, v98 row_newbcast:2 row_mask:0xf bank_mask:0xf// 0000000042C0: 0AC4C4FA FF015218
	v_mul_f32_dpp v99, v24, v99 row_newbcast:3 row_mask:0xf bank_mask:0xf// 0000000042C8: 0AC6C6FA FF015318
	v_mul_f32_dpp v100, v24, v100 row_newbcast:4 row_mask:0xf bank_mask:0xf// 0000000042D0: 0AC8C8FA FF015418
	v_mul_f32_dpp v101, v24, v101 row_newbcast:5 row_mask:0xf bank_mask:0xf// 0000000042D8: 0ACACAFA FF015518
	v_mul_f32_dpp v102, v24, v102 row_newbcast:6 row_mask:0xf bank_mask:0xf// 0000000042E0: 0ACCCCFA FF015618
	v_mul_f32_dpp v103, v24, v103 row_newbcast:7 row_mask:0xf bank_mask:0xf// 0000000042E8: 0ACECEFA FF015718
	v_mul_f32_dpp v104, v24, v104 row_newbcast:4 row_mask:0xf bank_mask:0xf// 0000000042F0: 0AD0D0FA FF015418
	v_mul_f32_dpp v105, v24, v105 row_newbcast:5 row_mask:0xf bank_mask:0xf// 0000000042F8: 0AD2D2FA FF015518
	v_mul_f32_dpp v106, v24, v106 row_newbcast:6 row_mask:0xf bank_mask:0xf// 000000004300: 0AD4D4FA FF015618
	v_mul_f32_dpp v107, v24, v107 row_newbcast:7 row_mask:0xf bank_mask:0xf// 000000004308: 0AD6D6FA FF015718
	v_mul_f32_dpp v108, v24, v108 row_newbcast:4 row_mask:0xf bank_mask:0xf// 000000004310: 0AD8D8FA FF015418
	v_mul_f32_dpp v109, v24, v109 row_newbcast:5 row_mask:0xf bank_mask:0xf// 000000004318: 0ADADAFA FF015518
	v_mul_f32_dpp v110, v24, v110 row_newbcast:6 row_mask:0xf bank_mask:0xf// 000000004320: 0ADCDCFA FF015618
	v_mul_f32_dpp v111, v24, v111 row_newbcast:7 row_mask:0xf bank_mask:0xf// 000000004328: 0ADEDEFA FF015718
	v_mul_f32_dpp v112, v24, v112 row_newbcast:4 row_mask:0xf bank_mask:0xf// 000000004330: 0AE0E0FA FF015418
	v_mul_f32_dpp v113, v24, v113 row_newbcast:5 row_mask:0xf bank_mask:0xf// 000000004338: 0AE2E2FA FF015518
	v_mul_f32_dpp v114, v24, v114 row_newbcast:6 row_mask:0xf bank_mask:0xf// 000000004340: 0AE4E4FA FF015618
	v_mul_f32_dpp v115, v24, v115 row_newbcast:7 row_mask:0xf bank_mask:0xf// 000000004348: 0AE6E6FA FF015718
	v_mul_f32_dpp v116, v24, v116 row_newbcast:4 row_mask:0xf bank_mask:0xf// 000000004350: 0AE8E8FA FF015418
	v_mul_f32_dpp v117, v24, v117 row_newbcast:5 row_mask:0xf bank_mask:0xf// 000000004358: 0AEAEAFA FF015518
	v_mul_f32_dpp v118, v24, v118 row_newbcast:6 row_mask:0xf bank_mask:0xf// 000000004360: 0AECECFA FF015618
	v_mul_f32_dpp v119, v24, v119 row_newbcast:7 row_mask:0xf bank_mask:0xf// 000000004368: 0AEEEEFA FF015718
	v_mul_f32_dpp v120, v24, v120 row_newbcast:4 row_mask:0xf bank_mask:0xf// 000000004370: 0AF0F0FA FF015418
	v_mul_f32_dpp v121, v24, v121 row_newbcast:5 row_mask:0xf bank_mask:0xf// 000000004378: 0AF2F2FA FF015518
	v_mul_f32_dpp v122, v24, v122 row_newbcast:6 row_mask:0xf bank_mask:0xf// 000000004380: 0AF4F4FA FF015618
	v_mul_f32_dpp v123, v24, v123 row_newbcast:7 row_mask:0xf bank_mask:0xf// 000000004388: 0AF6F6FA FF015718
	v_mul_f32_dpp v124, v24, v124 row_newbcast:4 row_mask:0xf bank_mask:0xf// 000000004390: 0AF8F8FA FF015418
	v_mul_f32_dpp v125, v24, v125 row_newbcast:5 row_mask:0xf bank_mask:0xf// 000000004398: 0AFAFAFA FF015518
	v_mul_f32_dpp v126, v24, v126 row_newbcast:6 row_mask:0xf bank_mask:0xf// 0000000043A0: 0AFCFCFA FF015618
	v_mul_f32_dpp v127, v24, v127 row_newbcast:7 row_mask:0xf bank_mask:0xf// 0000000043A8: 0AFEFEFA FF015718
	v_mul_f32_dpp v128, v26, v128 row_newbcast:0 row_mask:0xf bank_mask:0xf// 0000000043B0: 0B0100FA FF01501A
	v_mul_f32_dpp v129, v26, v129 row_newbcast:1 row_mask:0xf bank_mask:0xf// 0000000043B8: 0B0302FA FF01511A
	v_mul_f32_dpp v130, v26, v130 row_newbcast:2 row_mask:0xf bank_mask:0xf// 0000000043C0: 0B0504FA FF01521A
	v_mul_f32_dpp v131, v26, v131 row_newbcast:3 row_mask:0xf bank_mask:0xf// 0000000043C8: 0B0706FA FF01531A
	v_mul_f32_dpp v132, v26, v132 row_newbcast:0 row_mask:0xf bank_mask:0xf// 0000000043D0: 0B0908FA FF01501A
	v_mul_f32_dpp v133, v26, v133 row_newbcast:1 row_mask:0xf bank_mask:0xf// 0000000043D8: 0B0B0AFA FF01511A
	v_mul_f32_dpp v134, v26, v134 row_newbcast:2 row_mask:0xf bank_mask:0xf// 0000000043E0: 0B0D0CFA FF01521A
	v_mul_f32_dpp v135, v26, v135 row_newbcast:3 row_mask:0xf bank_mask:0xf// 0000000043E8: 0B0F0EFA FF01531A
	v_mul_f32_dpp v136, v26, v136 row_newbcast:0 row_mask:0xf bank_mask:0xf// 0000000043F0: 0B1110FA FF01501A
	v_mul_f32_dpp v137, v26, v137 row_newbcast:1 row_mask:0xf bank_mask:0xf// 0000000043F8: 0B1312FA FF01511A
	v_mul_f32_dpp v138, v26, v138 row_newbcast:2 row_mask:0xf bank_mask:0xf// 000000004400: 0B1514FA FF01521A
	v_mul_f32_dpp v139, v26, v139 row_newbcast:3 row_mask:0xf bank_mask:0xf// 000000004408: 0B1716FA FF01531A
	v_mul_f32_dpp v140, v26, v140 row_newbcast:0 row_mask:0xf bank_mask:0xf// 000000004410: 0B1918FA FF01501A
	v_mul_f32_dpp v141, v26, v141 row_newbcast:1 row_mask:0xf bank_mask:0xf// 000000004418: 0B1B1AFA FF01511A
	v_mul_f32_dpp v142, v26, v142 row_newbcast:2 row_mask:0xf bank_mask:0xf// 000000004420: 0B1D1CFA FF01521A
	v_mul_f32_dpp v143, v26, v143 row_newbcast:3 row_mask:0xf bank_mask:0xf// 000000004428: 0B1F1EFA FF01531A
	v_mul_f32_dpp v144, v26, v144 row_newbcast:0 row_mask:0xf bank_mask:0xf// 000000004430: 0B2120FA FF01501A
	v_mul_f32_dpp v145, v26, v145 row_newbcast:1 row_mask:0xf bank_mask:0xf// 000000004438: 0B2322FA FF01511A
	v_mul_f32_dpp v146, v26, v146 row_newbcast:2 row_mask:0xf bank_mask:0xf// 000000004440: 0B2524FA FF01521A
	v_mul_f32_dpp v147, v26, v147 row_newbcast:3 row_mask:0xf bank_mask:0xf// 000000004448: 0B2726FA FF01531A
	v_mul_f32_dpp v148, v26, v148 row_newbcast:0 row_mask:0xf bank_mask:0xf// 000000004450: 0B2928FA FF01501A
	v_mul_f32_dpp v149, v26, v149 row_newbcast:1 row_mask:0xf bank_mask:0xf// 000000004458: 0B2B2AFA FF01511A
	v_mul_f32_dpp v150, v26, v150 row_newbcast:2 row_mask:0xf bank_mask:0xf// 000000004460: 0B2D2CFA FF01521A
	v_mul_f32_dpp v151, v26, v151 row_newbcast:3 row_mask:0xf bank_mask:0xf// 000000004468: 0B2F2EFA FF01531A
	v_mul_f32_dpp v152, v26, v152 row_newbcast:0 row_mask:0xf bank_mask:0xf// 000000004470: 0B3130FA FF01501A
	v_mul_f32_dpp v153, v26, v153 row_newbcast:1 row_mask:0xf bank_mask:0xf// 000000004478: 0B3332FA FF01511A
	v_mul_f32_dpp v154, v26, v154 row_newbcast:2 row_mask:0xf bank_mask:0xf// 000000004480: 0B3534FA FF01521A
	v_mul_f32_dpp v155, v26, v155 row_newbcast:3 row_mask:0xf bank_mask:0xf// 000000004488: 0B3736FA FF01531A
	v_mul_f32_dpp v156, v26, v156 row_newbcast:4 row_mask:0xf bank_mask:0xf// 000000004490: 0B3938FA FF01541A
	v_mul_f32_dpp v157, v26, v157 row_newbcast:5 row_mask:0xf bank_mask:0xf// 000000004498: 0B3B3AFA FF01551A
	v_mul_f32_dpp v158, v26, v158 row_newbcast:6 row_mask:0xf bank_mask:0xf// 0000000044A0: 0B3D3CFA FF01561A
	v_mul_f32_dpp v159, v26, v159 row_newbcast:7 row_mask:0xf bank_mask:0xf// 0000000044A8: 0B3F3EFA FF01571A
	v_mul_f32_dpp v160, v26, v160 row_newbcast:4 row_mask:0xf bank_mask:0xf// 0000000044B0: 0B4140FA FF01541A
	v_mul_f32_dpp v161, v26, v161 row_newbcast:5 row_mask:0xf bank_mask:0xf// 0000000044B8: 0B4342FA FF01551A
	v_mul_f32_dpp v162, v26, v162 row_newbcast:6 row_mask:0xf bank_mask:0xf// 0000000044C0: 0B4544FA FF01561A
	v_mul_f32_dpp v163, v26, v163 row_newbcast:7 row_mask:0xf bank_mask:0xf// 0000000044C8: 0B4746FA FF01571A
	v_mul_f32_dpp v164, v26, v164 row_newbcast:4 row_mask:0xf bank_mask:0xf// 0000000044D0: 0B4948FA FF01541A
	v_mul_f32_dpp v165, v26, v165 row_newbcast:5 row_mask:0xf bank_mask:0xf// 0000000044D8: 0B4B4AFA FF01551A
	v_mul_f32_dpp v166, v26, v166 row_newbcast:6 row_mask:0xf bank_mask:0xf// 0000000044E0: 0B4D4CFA FF01561A
	v_mul_f32_dpp v167, v26, v167 row_newbcast:7 row_mask:0xf bank_mask:0xf// 0000000044E8: 0B4F4EFA FF01571A
	v_mul_f32_dpp v168, v26, v168 row_newbcast:4 row_mask:0xf bank_mask:0xf// 0000000044F0: 0B5150FA FF01541A
	v_mul_f32_dpp v169, v26, v169 row_newbcast:5 row_mask:0xf bank_mask:0xf// 0000000044F8: 0B5352FA FF01551A
	v_mul_f32_dpp v170, v26, v170 row_newbcast:6 row_mask:0xf bank_mask:0xf// 000000004500: 0B5554FA FF01561A
	v_mul_f32_dpp v171, v26, v171 row_newbcast:7 row_mask:0xf bank_mask:0xf// 000000004508: 0B5756FA FF01571A
	v_mul_f32_dpp v172, v26, v172 row_newbcast:4 row_mask:0xf bank_mask:0xf// 000000004510: 0B5958FA FF01541A
	v_mul_f32_dpp v173, v26, v173 row_newbcast:5 row_mask:0xf bank_mask:0xf// 000000004518: 0B5B5AFA FF01551A
	v_mul_f32_dpp v174, v26, v174 row_newbcast:6 row_mask:0xf bank_mask:0xf// 000000004520: 0B5D5CFA FF01561A
	v_mul_f32_dpp v175, v26, v175 row_newbcast:7 row_mask:0xf bank_mask:0xf// 000000004528: 0B5F5EFA FF01571A
	v_mul_f32_dpp v176, v26, v176 row_newbcast:4 row_mask:0xf bank_mask:0xf// 000000004530: 0B6160FA FF01541A
	v_mul_f32_dpp v177, v26, v177 row_newbcast:5 row_mask:0xf bank_mask:0xf// 000000004538: 0B6362FA FF01551A
	v_mul_f32_dpp v178, v26, v178 row_newbcast:6 row_mask:0xf bank_mask:0xf// 000000004540: 0B6564FA FF01561A
	v_mul_f32_dpp v179, v26, v179 row_newbcast:7 row_mask:0xf bank_mask:0xf// 000000004548: 0B6766FA FF01571A
	v_mul_f32_dpp v180, v26, v180 row_newbcast:4 row_mask:0xf bank_mask:0xf// 000000004550: 0B6968FA FF01541A
	v_mul_f32_dpp v181, v26, v181 row_newbcast:5 row_mask:0xf bank_mask:0xf// 000000004558: 0B6B6AFA FF01551A
	v_mul_f32_dpp v182, v26, v182 row_newbcast:6 row_mask:0xf bank_mask:0xf// 000000004560: 0B6D6CFA FF01561A
	v_mul_f32_dpp v183, v26, v183 row_newbcast:7 row_mask:0xf bank_mask:0xf// 000000004568: 0B6F6EFA FF01571A
	v_mov_b32_e32 v4, v35                                      // 000000004570: 7E080323
	v_mov_b32_e32 v5, v4                                       // 000000004574: 7E0A0304
	v_pk_mul_f32 v[72:73], v[4:5], v[72:73]                    // 000000004578: D3B14048 18029104
	v_pk_mul_f32 v[128:129], v[4:5], v[128:129]                // 000000004580: D3B14080 18030104
	v_pk_mul_f32 v[74:75], v[4:5], v[74:75]                    // 000000004588: D3B1404A 18029504
	v_pk_mul_f32 v[130:131], v[4:5], v[130:131]                // 000000004590: D3B14082 18030504
	v_pk_mul_f32 v[100:101], v[4:5], v[100:101]                // 000000004598: D3B14064 1802C904
	v_pk_mul_f32 v[156:157], v[4:5], v[156:157]                // 0000000045A0: D3B1409C 18033904
	v_pk_mul_f32 v[102:103], v[4:5], v[102:103]                // 0000000045A8: D3B14066 1802CD04
	v_pk_mul_f32 v[158:159], v[4:5], v[158:159]                // 0000000045B0: D3B1409E 18033D04
	v_mov_b32_e32 v4, v36                                      // 0000000045B8: 7E080324
	v_mov_b32_e32 v5, v4                                       // 0000000045BC: 7E0A0304
	v_pk_mul_f32 v[76:77], v[4:5], v[76:77]                    // 0000000045C0: D3B1404C 18029904
	v_pk_mul_f32 v[132:133], v[4:5], v[132:133]                // 0000000045C8: D3B14084 18030904
	v_pk_mul_f32 v[78:79], v[4:5], v[78:79]                    // 0000000045D0: D3B1404E 18029D04
	v_pk_mul_f32 v[134:135], v[4:5], v[134:135]                // 0000000045D8: D3B14086 18030D04
	v_pk_mul_f32 v[104:105], v[4:5], v[104:105]                // 0000000045E0: D3B14068 1802D104
	v_pk_mul_f32 v[160:161], v[4:5], v[160:161]                // 0000000045E8: D3B140A0 18034104
	v_pk_mul_f32 v[106:107], v[4:5], v[106:107]                // 0000000045F0: D3B1406A 1802D504
	v_pk_mul_f32 v[162:163], v[4:5], v[162:163]                // 0000000045F8: D3B140A2 18034504
	v_mov_b32_e32 v4, v37                                      // 000000004600: 7E080325
	v_mov_b32_e32 v5, v4                                       // 000000004604: 7E0A0304
	v_pk_mul_f32 v[80:81], v[4:5], v[80:81]                    // 000000004608: D3B14050 1802A104
	v_pk_mul_f32 v[136:137], v[4:5], v[136:137]                // 000000004610: D3B14088 18031104
	v_pk_mul_f32 v[82:83], v[4:5], v[82:83]                    // 000000004618: D3B14052 1802A504
	v_pk_mul_f32 v[138:139], v[4:5], v[138:139]                // 000000004620: D3B1408A 18031504
	v_pk_mul_f32 v[108:109], v[4:5], v[108:109]                // 000000004628: D3B1406C 1802D904
	v_pk_mul_f32 v[164:165], v[4:5], v[164:165]                // 000000004630: D3B140A4 18034904
	v_pk_mul_f32 v[110:111], v[4:5], v[110:111]                // 000000004638: D3B1406E 1802DD04
	v_pk_mul_f32 v[166:167], v[4:5], v[166:167]                // 000000004640: D3B140A6 18034D04
	v_mov_b32_e32 v4, v38                                      // 000000004648: 7E080326
	v_mov_b32_e32 v5, v4                                       // 00000000464C: 7E0A0304
	v_pk_mul_f32 v[84:85], v[4:5], v[84:85]                    // 000000004650: D3B14054 1802A904
	v_pk_mul_f32 v[140:141], v[4:5], v[140:141]                // 000000004658: D3B1408C 18031904
	v_pk_mul_f32 v[86:87], v[4:5], v[86:87]                    // 000000004660: D3B14056 1802AD04
	v_pk_mul_f32 v[142:143], v[4:5], v[142:143]                // 000000004668: D3B1408E 18031D04
	v_pk_mul_f32 v[112:113], v[4:5], v[112:113]                // 000000004670: D3B14070 1802E104
	v_pk_mul_f32 v[168:169], v[4:5], v[168:169]                // 000000004678: D3B140A8 18035104
	v_pk_mul_f32 v[114:115], v[4:5], v[114:115]                // 000000004680: D3B14072 1802E504
	v_pk_mul_f32 v[170:171], v[4:5], v[170:171]                // 000000004688: D3B140AA 18035504
	v_mov_b32_e32 v4, v39                                      // 000000004690: 7E080327
	v_mov_b32_e32 v5, v4                                       // 000000004694: 7E0A0304
	v_pk_mul_f32 v[88:89], v[4:5], v[88:89]                    // 000000004698: D3B14058 1802B104
	v_pk_mul_f32 v[144:145], v[4:5], v[144:145]                // 0000000046A0: D3B14090 18032104
	v_pk_mul_f32 v[90:91], v[4:5], v[90:91]                    // 0000000046A8: D3B1405A 1802B504
	v_pk_mul_f32 v[146:147], v[4:5], v[146:147]                // 0000000046B0: D3B14092 18032504
	v_pk_mul_f32 v[116:117], v[4:5], v[116:117]                // 0000000046B8: D3B14074 1802E904
	v_pk_mul_f32 v[172:173], v[4:5], v[172:173]                // 0000000046C0: D3B140AC 18035904
	v_pk_mul_f32 v[118:119], v[4:5], v[118:119]                // 0000000046C8: D3B14076 1802ED04
	v_pk_mul_f32 v[174:175], v[4:5], v[174:175]                // 0000000046D0: D3B140AE 18035D04
	v_mov_b32_e32 v4, v40                                      // 0000000046D8: 7E080328
	v_mov_b32_e32 v5, v4                                       // 0000000046DC: 7E0A0304
	v_pk_mul_f32 v[92:93], v[4:5], v[92:93]                    // 0000000046E0: D3B1405C 1802B904
	v_pk_mul_f32 v[148:149], v[4:5], v[148:149]                // 0000000046E8: D3B14094 18032904
	v_pk_mul_f32 v[94:95], v[4:5], v[94:95]                    // 0000000046F0: D3B1405E 1802BD04
	v_pk_mul_f32 v[150:151], v[4:5], v[150:151]                // 0000000046F8: D3B14096 18032D04
	v_pk_mul_f32 v[120:121], v[4:5], v[120:121]                // 000000004700: D3B14078 1802F104
	v_pk_mul_f32 v[176:177], v[4:5], v[176:177]                // 000000004708: D3B140B0 18036104
	v_pk_mul_f32 v[122:123], v[4:5], v[122:123]                // 000000004710: D3B1407A 1802F504
	v_pk_mul_f32 v[178:179], v[4:5], v[178:179]                // 000000004718: D3B140B2 18036504
	v_mov_b32_e32 v4, v41                                      // 000000004720: 7E080329
	v_mov_b32_e32 v5, v4                                       // 000000004724: 7E0A0304
	v_pk_mul_f32 v[96:97], v[4:5], v[96:97]                    // 000000004728: D3B14060 1802C104
	v_pk_mul_f32 v[152:153], v[4:5], v[152:153]                // 000000004730: D3B14098 18033104
	v_pk_mul_f32 v[98:99], v[4:5], v[98:99]                    // 000000004738: D3B14062 1802C504
	v_pk_mul_f32 v[154:155], v[4:5], v[154:155]                // 000000004740: D3B1409A 18033504
	v_pk_mul_f32 v[124:125], v[4:5], v[124:125]                // 000000004748: D3B1407C 1802F904
	v_pk_mul_f32 v[180:181], v[4:5], v[180:181]                // 000000004750: D3B140B4 18036904
	v_pk_mul_f32 v[126:127], v[4:5], v[126:127]                // 000000004758: D3B1407E 1802FD04
	v_pk_mul_f32 v[182:183], v[4:5], v[182:183]                // 000000004760: D3B140B6 18036D04
	s_cmp_eq_u32 s88, 0                                        // 000000004768: BF068058
	s_cbranch_scc0 label_0F95                                  // 00000000476C: BF840839
	s_cmp_eq_u32 s89, 0                                        // 000000004770: BF068059
	s_cbranch_scc1 label_0993                                  // 000000004774: BF850235
	v_mov_b32_e32 v8, v1                                       // 000000004778: 7E100301
	v_mov_b32_e32 v9, v1                                       // 00000000477C: 7E120301
	s_mov_b32 s60, s6                                          // 000000004780: BEBC0006
	s_mov_b32 s61, s6                                          // 000000004784: BEBD0006
	v_pk_mul_f32 v[4:5], v[72:73], v[72:73]                    // 000000004788: D3B14004 18029148
	v_pk_mul_f32 v[6:7], v[74:75], v[74:75]                    // 000000004790: D3B14006 1802954A
	v_pk_fma_f32 v[4:5], v[4:5], s[78:79], v[8:9]              // 000000004798: D3B04004 1C209D04
	v_pk_fma_f32 v[6:7], v[6:7], s[78:79], v[8:9]              // 0000000047A0: D3B04006 1C209D06
	v_pk_mul_f32 v[4:5], v[4:5], v[72:73]                      // 0000000047A8: D3B14004 18029104
	v_pk_mul_f32 v[6:7], v[6:7], v[74:75]                      // 0000000047B0: D3B14006 18029506
	v_pk_mul_f32 v[4:5], v[4:5], s[60:61]                      // 0000000047B8: D3B14004 18007904
	v_pk_mul_f32 v[6:7], v[6:7], s[60:61]                      // 0000000047C0: D3B14006 18007906
	v_exp_f32_e32 v4, v4                                       // 0000000047C8: 7E084104
	v_exp_f32_e32 v5, v5                                       // 0000000047CC: 7E0A4105
	v_exp_f32_e32 v6, v6                                       // 0000000047D0: 7E0C4106
	v_exp_f32_e32 v7, v7                                       // 0000000047D4: 7E0E4107
	v_add_f32_e64 v4, v4, 1.0                                  // 0000000047D8: D1010004 0001E504
	v_add_f32_e64 v5, v5, 1.0                                  // 0000000047E0: D1010005 0001E505
	v_add_f32_e64 v6, v6, 1.0                                  // 0000000047E8: D1010006 0001E506
	v_add_f32_e64 v7, v7, 1.0                                  // 0000000047F0: D1010007 0001E507
	v_rcp_f32_e32 v4, v4                                       // 0000000047F8: 7E084504
	v_rcp_f32_e32 v5, v5                                       // 0000000047FC: 7E0A4505
	v_rcp_f32_e32 v6, v6                                       // 000000004800: 7E0C4506
	v_rcp_f32_e32 v7, v7                                       // 000000004804: 7E0E4507
	v_mul_f32_e32 v72, v72, v4                                 // 000000004808: 0A900948
	v_mul_f32_e32 v73, v73, v5                                 // 00000000480C: 0A920B49
	v_mul_f32_e32 v74, v74, v6                                 // 000000004810: 0A940D4A
	v_mul_f32_e32 v75, v75, v7                                 // 000000004814: 0A960F4B
	v_mul_f32_e32 v72, v72, v128                               // 000000004818: 0A910148
	v_mul_f32_e32 v73, v73, v129                               // 00000000481C: 0A930349
	v_mul_f32_e32 v74, v74, v130                               // 000000004820: 0A95054A
	v_mul_f32_e32 v75, v75, v131                               // 000000004824: 0A97074B
	v_pk_mul_f32 v[4:5], v[76:77], v[76:77]                    // 000000004828: D3B14004 1802994C
	v_pk_mul_f32 v[6:7], v[78:79], v[78:79]                    // 000000004830: D3B14006 18029D4E
	v_pk_fma_f32 v[4:5], v[4:5], s[78:79], v[8:9]              // 000000004838: D3B04004 1C209D04
	v_pk_fma_f32 v[6:7], v[6:7], s[78:79], v[8:9]              // 000000004840: D3B04006 1C209D06
	v_pk_mul_f32 v[4:5], v[4:5], v[76:77]                      // 000000004848: D3B14004 18029904
	v_pk_mul_f32 v[6:7], v[6:7], v[78:79]                      // 000000004850: D3B14006 18029D06
	v_pk_mul_f32 v[4:5], v[4:5], s[60:61]                      // 000000004858: D3B14004 18007904
	v_pk_mul_f32 v[6:7], v[6:7], s[60:61]                      // 000000004860: D3B14006 18007906
	v_exp_f32_e32 v4, v4                                       // 000000004868: 7E084104
	v_exp_f32_e32 v5, v5                                       // 00000000486C: 7E0A4105
	v_exp_f32_e32 v6, v6                                       // 000000004870: 7E0C4106
	v_exp_f32_e32 v7, v7                                       // 000000004874: 7E0E4107
	v_add_f32_e64 v4, v4, 1.0                                  // 000000004878: D1010004 0001E504
	v_add_f32_e64 v5, v5, 1.0                                  // 000000004880: D1010005 0001E505
	v_add_f32_e64 v6, v6, 1.0                                  // 000000004888: D1010006 0001E506
	v_add_f32_e64 v7, v7, 1.0                                  // 000000004890: D1010007 0001E507
	v_rcp_f32_e32 v4, v4                                       // 000000004898: 7E084504
	v_rcp_f32_e32 v5, v5                                       // 00000000489C: 7E0A4505
	v_rcp_f32_e32 v6, v6                                       // 0000000048A0: 7E0C4506
	v_rcp_f32_e32 v7, v7                                       // 0000000048A4: 7E0E4507
	v_mul_f32_e32 v76, v76, v4                                 // 0000000048A8: 0A98094C
	v_mul_f32_e32 v77, v77, v5                                 // 0000000048AC: 0A9A0B4D
	v_mul_f32_e32 v78, v78, v6                                 // 0000000048B0: 0A9C0D4E
	v_mul_f32_e32 v79, v79, v7                                 // 0000000048B4: 0A9E0F4F
	v_mul_f32_e32 v76, v76, v132                               // 0000000048B8: 0A99094C
	v_mul_f32_e32 v77, v77, v133                               // 0000000048BC: 0A9B0B4D
	v_mul_f32_e32 v78, v78, v134                               // 0000000048C0: 0A9D0D4E
	v_mul_f32_e32 v79, v79, v135                               // 0000000048C4: 0A9F0F4F
	v_pk_mul_f32 v[4:5], v[80:81], v[80:81]                    // 0000000048C8: D3B14004 1802A150
	v_pk_mul_f32 v[6:7], v[82:83], v[82:83]                    // 0000000048D0: D3B14006 1802A552
	v_pk_fma_f32 v[4:5], v[4:5], s[78:79], v[8:9]              // 0000000048D8: D3B04004 1C209D04
	v_pk_fma_f32 v[6:7], v[6:7], s[78:79], v[8:9]              // 0000000048E0: D3B04006 1C209D06
	v_pk_mul_f32 v[4:5], v[4:5], v[80:81]                      // 0000000048E8: D3B14004 1802A104
	v_pk_mul_f32 v[6:7], v[6:7], v[82:83]                      // 0000000048F0: D3B14006 1802A506
	v_pk_mul_f32 v[4:5], v[4:5], s[60:61]                      // 0000000048F8: D3B14004 18007904
	v_pk_mul_f32 v[6:7], v[6:7], s[60:61]                      // 000000004900: D3B14006 18007906
	v_exp_f32_e32 v4, v4                                       // 000000004908: 7E084104
	v_exp_f32_e32 v5, v5                                       // 00000000490C: 7E0A4105
	v_exp_f32_e32 v6, v6                                       // 000000004910: 7E0C4106
	v_exp_f32_e32 v7, v7                                       // 000000004914: 7E0E4107
	v_add_f32_e64 v4, v4, 1.0                                  // 000000004918: D1010004 0001E504
	v_add_f32_e64 v5, v5, 1.0                                  // 000000004920: D1010005 0001E505
	v_add_f32_e64 v6, v6, 1.0                                  // 000000004928: D1010006 0001E506
	v_add_f32_e64 v7, v7, 1.0                                  // 000000004930: D1010007 0001E507
	v_rcp_f32_e32 v4, v4                                       // 000000004938: 7E084504
	v_rcp_f32_e32 v5, v5                                       // 00000000493C: 7E0A4505
	v_rcp_f32_e32 v6, v6                                       // 000000004940: 7E0C4506
	v_rcp_f32_e32 v7, v7                                       // 000000004944: 7E0E4507
	v_mul_f32_e32 v80, v80, v4                                 // 000000004948: 0AA00950
	v_mul_f32_e32 v81, v81, v5                                 // 00000000494C: 0AA20B51
	v_mul_f32_e32 v82, v82, v6                                 // 000000004950: 0AA40D52
	v_mul_f32_e32 v83, v83, v7                                 // 000000004954: 0AA60F53
	v_mul_f32_e32 v80, v80, v136                               // 000000004958: 0AA11150
	v_mul_f32_e32 v81, v81, v137                               // 00000000495C: 0AA31351
	v_mul_f32_e32 v82, v82, v138                               // 000000004960: 0AA51552
	v_mul_f32_e32 v83, v83, v139                               // 000000004964: 0AA71753
	v_pk_mul_f32 v[4:5], v[84:85], v[84:85]                    // 000000004968: D3B14004 1802A954
	v_pk_mul_f32 v[6:7], v[86:87], v[86:87]                    // 000000004970: D3B14006 1802AD56
	v_pk_fma_f32 v[4:5], v[4:5], s[78:79], v[8:9]              // 000000004978: D3B04004 1C209D04
	v_pk_fma_f32 v[6:7], v[6:7], s[78:79], v[8:9]              // 000000004980: D3B04006 1C209D06
	v_pk_mul_f32 v[4:5], v[4:5], v[84:85]                      // 000000004988: D3B14004 1802A904
	v_pk_mul_f32 v[6:7], v[6:7], v[86:87]                      // 000000004990: D3B14006 1802AD06
	v_pk_mul_f32 v[4:5], v[4:5], s[60:61]                      // 000000004998: D3B14004 18007904
	v_pk_mul_f32 v[6:7], v[6:7], s[60:61]                      // 0000000049A0: D3B14006 18007906
	v_exp_f32_e32 v4, v4                                       // 0000000049A8: 7E084104
	v_exp_f32_e32 v5, v5                                       // 0000000049AC: 7E0A4105
	v_exp_f32_e32 v6, v6                                       // 0000000049B0: 7E0C4106
	v_exp_f32_e32 v7, v7                                       // 0000000049B4: 7E0E4107
	v_add_f32_e64 v4, v4, 1.0                                  // 0000000049B8: D1010004 0001E504
	v_add_f32_e64 v5, v5, 1.0                                  // 0000000049C0: D1010005 0001E505
	v_add_f32_e64 v6, v6, 1.0                                  // 0000000049C8: D1010006 0001E506
	v_add_f32_e64 v7, v7, 1.0                                  // 0000000049D0: D1010007 0001E507
	v_rcp_f32_e32 v4, v4                                       // 0000000049D8: 7E084504
	v_rcp_f32_e32 v5, v5                                       // 0000000049DC: 7E0A4505
	v_rcp_f32_e32 v6, v6                                       // 0000000049E0: 7E0C4506
	v_rcp_f32_e32 v7, v7                                       // 0000000049E4: 7E0E4507
	v_mul_f32_e32 v84, v84, v4                                 // 0000000049E8: 0AA80954
	v_mul_f32_e32 v85, v85, v5                                 // 0000000049EC: 0AAA0B55
	v_mul_f32_e32 v86, v86, v6                                 // 0000000049F0: 0AAC0D56
	v_mul_f32_e32 v87, v87, v7                                 // 0000000049F4: 0AAE0F57
	v_mul_f32_e32 v84, v84, v140                               // 0000000049F8: 0AA91954
	v_mul_f32_e32 v85, v85, v141                               // 0000000049FC: 0AAB1B55
	v_mul_f32_e32 v86, v86, v142                               // 000000004A00: 0AAD1D56
	v_mul_f32_e32 v87, v87, v143                               // 000000004A04: 0AAF1F57
	v_pk_mul_f32 v[4:5], v[88:89], v[88:89]                    // 000000004A08: D3B14004 1802B158
	v_pk_mul_f32 v[6:7], v[90:91], v[90:91]                    // 000000004A10: D3B14006 1802B55A
	v_pk_fma_f32 v[4:5], v[4:5], s[78:79], v[8:9]              // 000000004A18: D3B04004 1C209D04
	v_pk_fma_f32 v[6:7], v[6:7], s[78:79], v[8:9]              // 000000004A20: D3B04006 1C209D06
	v_pk_mul_f32 v[4:5], v[4:5], v[88:89]                      // 000000004A28: D3B14004 1802B104
	v_pk_mul_f32 v[6:7], v[6:7], v[90:91]                      // 000000004A30: D3B14006 1802B506
	v_pk_mul_f32 v[4:5], v[4:5], s[60:61]                      // 000000004A38: D3B14004 18007904
	v_pk_mul_f32 v[6:7], v[6:7], s[60:61]                      // 000000004A40: D3B14006 18007906
	v_exp_f32_e32 v4, v4                                       // 000000004A48: 7E084104
	v_exp_f32_e32 v5, v5                                       // 000000004A4C: 7E0A4105
	v_exp_f32_e32 v6, v6                                       // 000000004A50: 7E0C4106
	v_exp_f32_e32 v7, v7                                       // 000000004A54: 7E0E4107
	v_add_f32_e64 v4, v4, 1.0                                  // 000000004A58: D1010004 0001E504
	v_add_f32_e64 v5, v5, 1.0                                  // 000000004A60: D1010005 0001E505
	v_add_f32_e64 v6, v6, 1.0                                  // 000000004A68: D1010006 0001E506
	v_add_f32_e64 v7, v7, 1.0                                  // 000000004A70: D1010007 0001E507
	v_rcp_f32_e32 v4, v4                                       // 000000004A78: 7E084504
	v_rcp_f32_e32 v5, v5                                       // 000000004A7C: 7E0A4505
	v_rcp_f32_e32 v6, v6                                       // 000000004A80: 7E0C4506
	v_rcp_f32_e32 v7, v7                                       // 000000004A84: 7E0E4507
	v_mul_f32_e32 v88, v88, v4                                 // 000000004A88: 0AB00958
	v_mul_f32_e32 v89, v89, v5                                 // 000000004A8C: 0AB20B59
	v_mul_f32_e32 v90, v90, v6                                 // 000000004A90: 0AB40D5A
	v_mul_f32_e32 v91, v91, v7                                 // 000000004A94: 0AB60F5B
	v_mul_f32_e32 v88, v88, v144                               // 000000004A98: 0AB12158
	v_mul_f32_e32 v89, v89, v145                               // 000000004A9C: 0AB32359
	v_mul_f32_e32 v90, v90, v146                               // 000000004AA0: 0AB5255A
	v_mul_f32_e32 v91, v91, v147                               // 000000004AA4: 0AB7275B
	v_pk_mul_f32 v[4:5], v[92:93], v[92:93]                    // 000000004AA8: D3B14004 1802B95C
	v_pk_mul_f32 v[6:7], v[94:95], v[94:95]                    // 000000004AB0: D3B14006 1802BD5E
	v_pk_fma_f32 v[4:5], v[4:5], s[78:79], v[8:9]              // 000000004AB8: D3B04004 1C209D04
	v_pk_fma_f32 v[6:7], v[6:7], s[78:79], v[8:9]              // 000000004AC0: D3B04006 1C209D06
	v_pk_mul_f32 v[4:5], v[4:5], v[92:93]                      // 000000004AC8: D3B14004 1802B904
	v_pk_mul_f32 v[6:7], v[6:7], v[94:95]                      // 000000004AD0: D3B14006 1802BD06
	v_pk_mul_f32 v[4:5], v[4:5], s[60:61]                      // 000000004AD8: D3B14004 18007904
	v_pk_mul_f32 v[6:7], v[6:7], s[60:61]                      // 000000004AE0: D3B14006 18007906
	v_exp_f32_e32 v4, v4                                       // 000000004AE8: 7E084104
	v_exp_f32_e32 v5, v5                                       // 000000004AEC: 7E0A4105
	v_exp_f32_e32 v6, v6                                       // 000000004AF0: 7E0C4106
	v_exp_f32_e32 v7, v7                                       // 000000004AF4: 7E0E4107
	v_add_f32_e64 v4, v4, 1.0                                  // 000000004AF8: D1010004 0001E504
	v_add_f32_e64 v5, v5, 1.0                                  // 000000004B00: D1010005 0001E505
	v_add_f32_e64 v6, v6, 1.0                                  // 000000004B08: D1010006 0001E506
	v_add_f32_e64 v7, v7, 1.0                                  // 000000004B10: D1010007 0001E507
	v_rcp_f32_e32 v4, v4                                       // 000000004B18: 7E084504
	v_rcp_f32_e32 v5, v5                                       // 000000004B1C: 7E0A4505
	v_rcp_f32_e32 v6, v6                                       // 000000004B20: 7E0C4506
	v_rcp_f32_e32 v7, v7                                       // 000000004B24: 7E0E4507
	v_mul_f32_e32 v92, v92, v4                                 // 000000004B28: 0AB8095C
	v_mul_f32_e32 v93, v93, v5                                 // 000000004B2C: 0ABA0B5D
	v_mul_f32_e32 v94, v94, v6                                 // 000000004B30: 0ABC0D5E
	v_mul_f32_e32 v95, v95, v7                                 // 000000004B34: 0ABE0F5F
	v_mul_f32_e32 v92, v92, v148                               // 000000004B38: 0AB9295C
	v_mul_f32_e32 v93, v93, v149                               // 000000004B3C: 0ABB2B5D
	v_mul_f32_e32 v94, v94, v150                               // 000000004B40: 0ABD2D5E
	v_mul_f32_e32 v95, v95, v151                               // 000000004B44: 0ABF2F5F
	v_pk_mul_f32 v[4:5], v[96:97], v[96:97]                    // 000000004B48: D3B14004 1802C160
	v_pk_mul_f32 v[6:7], v[98:99], v[98:99]                    // 000000004B50: D3B14006 1802C562
	v_pk_fma_f32 v[4:5], v[4:5], s[78:79], v[8:9]              // 000000004B58: D3B04004 1C209D04
	v_pk_fma_f32 v[6:7], v[6:7], s[78:79], v[8:9]              // 000000004B60: D3B04006 1C209D06
	v_pk_mul_f32 v[4:5], v[4:5], v[96:97]                      // 000000004B68: D3B14004 1802C104
	v_pk_mul_f32 v[6:7], v[6:7], v[98:99]                      // 000000004B70: D3B14006 1802C506
	v_pk_mul_f32 v[4:5], v[4:5], s[60:61]                      // 000000004B78: D3B14004 18007904
	v_pk_mul_f32 v[6:7], v[6:7], s[60:61]                      // 000000004B80: D3B14006 18007906
	v_exp_f32_e32 v4, v4                                       // 000000004B88: 7E084104
	v_exp_f32_e32 v5, v5                                       // 000000004B8C: 7E0A4105
	v_exp_f32_e32 v6, v6                                       // 000000004B90: 7E0C4106
	v_exp_f32_e32 v7, v7                                       // 000000004B94: 7E0E4107
	v_add_f32_e64 v4, v4, 1.0                                  // 000000004B98: D1010004 0001E504
	v_add_f32_e64 v5, v5, 1.0                                  // 000000004BA0: D1010005 0001E505
	v_add_f32_e64 v6, v6, 1.0                                  // 000000004BA8: D1010006 0001E506
	v_add_f32_e64 v7, v7, 1.0                                  // 000000004BB0: D1010007 0001E507
	v_rcp_f32_e32 v4, v4                                       // 000000004BB8: 7E084504
	v_rcp_f32_e32 v5, v5                                       // 000000004BBC: 7E0A4505
	v_rcp_f32_e32 v6, v6                                       // 000000004BC0: 7E0C4506
	v_rcp_f32_e32 v7, v7                                       // 000000004BC4: 7E0E4507
	v_mul_f32_e32 v96, v96, v4                                 // 000000004BC8: 0AC00960
	v_mul_f32_e32 v97, v97, v5                                 // 000000004BCC: 0AC20B61
	v_mul_f32_e32 v98, v98, v6                                 // 000000004BD0: 0AC40D62
	v_mul_f32_e32 v99, v99, v7                                 // 000000004BD4: 0AC60F63
	v_mul_f32_e32 v96, v96, v152                               // 000000004BD8: 0AC13160
	v_mul_f32_e32 v97, v97, v153                               // 000000004BDC: 0AC33361
	v_mul_f32_e32 v98, v98, v154                               // 000000004BE0: 0AC53562
	v_mul_f32_e32 v99, v99, v155                               // 000000004BE4: 0AC73763
	v_pk_mul_f32 v[4:5], v[100:101], v[100:101]                // 000000004BE8: D3B14004 1802C964
	v_pk_mul_f32 v[6:7], v[102:103], v[102:103]                // 000000004BF0: D3B14006 1802CD66
	v_pk_fma_f32 v[4:5], v[4:5], s[78:79], v[8:9]              // 000000004BF8: D3B04004 1C209D04
	v_pk_fma_f32 v[6:7], v[6:7], s[78:79], v[8:9]              // 000000004C00: D3B04006 1C209D06
	v_pk_mul_f32 v[4:5], v[4:5], v[100:101]                    // 000000004C08: D3B14004 1802C904
	v_pk_mul_f32 v[6:7], v[6:7], v[102:103]                    // 000000004C10: D3B14006 1802CD06
	v_pk_mul_f32 v[4:5], v[4:5], s[60:61]                      // 000000004C18: D3B14004 18007904
	v_pk_mul_f32 v[6:7], v[6:7], s[60:61]                      // 000000004C20: D3B14006 18007906
	v_exp_f32_e32 v4, v4                                       // 000000004C28: 7E084104
	v_exp_f32_e32 v5, v5                                       // 000000004C2C: 7E0A4105
	v_exp_f32_e32 v6, v6                                       // 000000004C30: 7E0C4106
	v_exp_f32_e32 v7, v7                                       // 000000004C34: 7E0E4107
	v_add_f32_e64 v4, v4, 1.0                                  // 000000004C38: D1010004 0001E504
	v_add_f32_e64 v5, v5, 1.0                                  // 000000004C40: D1010005 0001E505
	v_add_f32_e64 v6, v6, 1.0                                  // 000000004C48: D1010006 0001E506
	v_add_f32_e64 v7, v7, 1.0                                  // 000000004C50: D1010007 0001E507
	v_rcp_f32_e32 v4, v4                                       // 000000004C58: 7E084504
	v_rcp_f32_e32 v5, v5                                       // 000000004C5C: 7E0A4505
	v_rcp_f32_e32 v6, v6                                       // 000000004C60: 7E0C4506
	v_rcp_f32_e32 v7, v7                                       // 000000004C64: 7E0E4507
	v_mul_f32_e32 v100, v100, v4                               // 000000004C68: 0AC80964
	v_mul_f32_e32 v101, v101, v5                               // 000000004C6C: 0ACA0B65
	v_mul_f32_e32 v102, v102, v6                               // 000000004C70: 0ACC0D66
	v_mul_f32_e32 v103, v103, v7                               // 000000004C74: 0ACE0F67
	v_mul_f32_e32 v100, v100, v156                             // 000000004C78: 0AC93964
	v_mul_f32_e32 v101, v101, v157                             // 000000004C7C: 0ACB3B65
	v_mul_f32_e32 v102, v102, v158                             // 000000004C80: 0ACD3D66
	v_mul_f32_e32 v103, v103, v159                             // 000000004C84: 0ACF3F67
	v_pk_mul_f32 v[4:5], v[104:105], v[104:105]                // 000000004C88: D3B14004 1802D168
	v_pk_mul_f32 v[6:7], v[106:107], v[106:107]                // 000000004C90: D3B14006 1802D56A
	v_pk_fma_f32 v[4:5], v[4:5], s[78:79], v[8:9]              // 000000004C98: D3B04004 1C209D04
	v_pk_fma_f32 v[6:7], v[6:7], s[78:79], v[8:9]              // 000000004CA0: D3B04006 1C209D06
	v_pk_mul_f32 v[4:5], v[4:5], v[104:105]                    // 000000004CA8: D3B14004 1802D104
	v_pk_mul_f32 v[6:7], v[6:7], v[106:107]                    // 000000004CB0: D3B14006 1802D506
	v_pk_mul_f32 v[4:5], v[4:5], s[60:61]                      // 000000004CB8: D3B14004 18007904
	v_pk_mul_f32 v[6:7], v[6:7], s[60:61]                      // 000000004CC0: D3B14006 18007906
	v_exp_f32_e32 v4, v4                                       // 000000004CC8: 7E084104
	v_exp_f32_e32 v5, v5                                       // 000000004CCC: 7E0A4105
	v_exp_f32_e32 v6, v6                                       // 000000004CD0: 7E0C4106
	v_exp_f32_e32 v7, v7                                       // 000000004CD4: 7E0E4107
	v_add_f32_e64 v4, v4, 1.0                                  // 000000004CD8: D1010004 0001E504
	v_add_f32_e64 v5, v5, 1.0                                  // 000000004CE0: D1010005 0001E505
	v_add_f32_e64 v6, v6, 1.0                                  // 000000004CE8: D1010006 0001E506
	v_add_f32_e64 v7, v7, 1.0                                  // 000000004CF0: D1010007 0001E507
	v_rcp_f32_e32 v4, v4                                       // 000000004CF8: 7E084504
	v_rcp_f32_e32 v5, v5                                       // 000000004CFC: 7E0A4505
	v_rcp_f32_e32 v6, v6                                       // 000000004D00: 7E0C4506
	v_rcp_f32_e32 v7, v7                                       // 000000004D04: 7E0E4507
	v_mul_f32_e32 v104, v104, v4                               // 000000004D08: 0AD00968
	v_mul_f32_e32 v105, v105, v5                               // 000000004D0C: 0AD20B69
	v_mul_f32_e32 v106, v106, v6                               // 000000004D10: 0AD40D6A
	v_mul_f32_e32 v107, v107, v7                               // 000000004D14: 0AD60F6B
	v_mul_f32_e32 v104, v104, v160                             // 000000004D18: 0AD14168
	v_mul_f32_e32 v105, v105, v161                             // 000000004D1C: 0AD34369
	v_mul_f32_e32 v106, v106, v162                             // 000000004D20: 0AD5456A
	v_mul_f32_e32 v107, v107, v163                             // 000000004D24: 0AD7476B
	v_pk_mul_f32 v[4:5], v[108:109], v[108:109]                // 000000004D28: D3B14004 1802D96C
	v_pk_mul_f32 v[6:7], v[110:111], v[110:111]                // 000000004D30: D3B14006 1802DD6E
	v_pk_fma_f32 v[4:5], v[4:5], s[78:79], v[8:9]              // 000000004D38: D3B04004 1C209D04
	v_pk_fma_f32 v[6:7], v[6:7], s[78:79], v[8:9]              // 000000004D40: D3B04006 1C209D06
	v_pk_mul_f32 v[4:5], v[4:5], v[108:109]                    // 000000004D48: D3B14004 1802D904
	v_pk_mul_f32 v[6:7], v[6:7], v[110:111]                    // 000000004D50: D3B14006 1802DD06
	v_pk_mul_f32 v[4:5], v[4:5], s[60:61]                      // 000000004D58: D3B14004 18007904
	v_pk_mul_f32 v[6:7], v[6:7], s[60:61]                      // 000000004D60: D3B14006 18007906
	v_exp_f32_e32 v4, v4                                       // 000000004D68: 7E084104
	v_exp_f32_e32 v5, v5                                       // 000000004D6C: 7E0A4105
	v_exp_f32_e32 v6, v6                                       // 000000004D70: 7E0C4106
	v_exp_f32_e32 v7, v7                                       // 000000004D74: 7E0E4107
	v_add_f32_e64 v4, v4, 1.0                                  // 000000004D78: D1010004 0001E504
	v_add_f32_e64 v5, v5, 1.0                                  // 000000004D80: D1010005 0001E505
	v_add_f32_e64 v6, v6, 1.0                                  // 000000004D88: D1010006 0001E506
	v_add_f32_e64 v7, v7, 1.0                                  // 000000004D90: D1010007 0001E507
	v_rcp_f32_e32 v4, v4                                       // 000000004D98: 7E084504
	v_rcp_f32_e32 v5, v5                                       // 000000004D9C: 7E0A4505
	v_rcp_f32_e32 v6, v6                                       // 000000004DA0: 7E0C4506
	v_rcp_f32_e32 v7, v7                                       // 000000004DA4: 7E0E4507
	v_mul_f32_e32 v108, v108, v4                               // 000000004DA8: 0AD8096C
	v_mul_f32_e32 v109, v109, v5                               // 000000004DAC: 0ADA0B6D
	v_mul_f32_e32 v110, v110, v6                               // 000000004DB0: 0ADC0D6E
	v_mul_f32_e32 v111, v111, v7                               // 000000004DB4: 0ADE0F6F
	v_mul_f32_e32 v108, v108, v164                             // 000000004DB8: 0AD9496C
	v_mul_f32_e32 v109, v109, v165                             // 000000004DBC: 0ADB4B6D
	v_mul_f32_e32 v110, v110, v166                             // 000000004DC0: 0ADD4D6E
	v_mul_f32_e32 v111, v111, v167                             // 000000004DC4: 0ADF4F6F
	v_pk_mul_f32 v[4:5], v[112:113], v[112:113]                // 000000004DC8: D3B14004 1802E170
	v_pk_mul_f32 v[6:7], v[114:115], v[114:115]                // 000000004DD0: D3B14006 1802E572
	v_pk_fma_f32 v[4:5], v[4:5], s[78:79], v[8:9]              // 000000004DD8: D3B04004 1C209D04
	v_pk_fma_f32 v[6:7], v[6:7], s[78:79], v[8:9]              // 000000004DE0: D3B04006 1C209D06
	v_pk_mul_f32 v[4:5], v[4:5], v[112:113]                    // 000000004DE8: D3B14004 1802E104
	v_pk_mul_f32 v[6:7], v[6:7], v[114:115]                    // 000000004DF0: D3B14006 1802E506
	v_pk_mul_f32 v[4:5], v[4:5], s[60:61]                      // 000000004DF8: D3B14004 18007904
	v_pk_mul_f32 v[6:7], v[6:7], s[60:61]                      // 000000004E00: D3B14006 18007906
	v_exp_f32_e32 v4, v4                                       // 000000004E08: 7E084104
	v_exp_f32_e32 v5, v5                                       // 000000004E0C: 7E0A4105
	v_exp_f32_e32 v6, v6                                       // 000000004E10: 7E0C4106
	v_exp_f32_e32 v7, v7                                       // 000000004E14: 7E0E4107
	v_add_f32_e64 v4, v4, 1.0                                  // 000000004E18: D1010004 0001E504
	v_add_f32_e64 v5, v5, 1.0                                  // 000000004E20: D1010005 0001E505
	v_add_f32_e64 v6, v6, 1.0                                  // 000000004E28: D1010006 0001E506
	v_add_f32_e64 v7, v7, 1.0                                  // 000000004E30: D1010007 0001E507
	v_rcp_f32_e32 v4, v4                                       // 000000004E38: 7E084504
	v_rcp_f32_e32 v5, v5                                       // 000000004E3C: 7E0A4505
	v_rcp_f32_e32 v6, v6                                       // 000000004E40: 7E0C4506
	v_rcp_f32_e32 v7, v7                                       // 000000004E44: 7E0E4507
	v_mul_f32_e32 v112, v112, v4                               // 000000004E48: 0AE00970
	v_mul_f32_e32 v113, v113, v5                               // 000000004E4C: 0AE20B71
	v_mul_f32_e32 v114, v114, v6                               // 000000004E50: 0AE40D72
	v_mul_f32_e32 v115, v115, v7                               // 000000004E54: 0AE60F73
	v_mul_f32_e32 v112, v112, v168                             // 000000004E58: 0AE15170
	v_mul_f32_e32 v113, v113, v169                             // 000000004E5C: 0AE35371
	v_mul_f32_e32 v114, v114, v170                             // 000000004E60: 0AE55572
	v_mul_f32_e32 v115, v115, v171                             // 000000004E64: 0AE75773
	v_pk_mul_f32 v[4:5], v[116:117], v[116:117]                // 000000004E68: D3B14004 1802E974
	v_pk_mul_f32 v[6:7], v[118:119], v[118:119]                // 000000004E70: D3B14006 1802ED76
	v_pk_fma_f32 v[4:5], v[4:5], s[78:79], v[8:9]              // 000000004E78: D3B04004 1C209D04
	v_pk_fma_f32 v[6:7], v[6:7], s[78:79], v[8:9]              // 000000004E80: D3B04006 1C209D06
	v_pk_mul_f32 v[4:5], v[4:5], v[116:117]                    // 000000004E88: D3B14004 1802E904
	v_pk_mul_f32 v[6:7], v[6:7], v[118:119]                    // 000000004E90: D3B14006 1802ED06
	v_pk_mul_f32 v[4:5], v[4:5], s[60:61]                      // 000000004E98: D3B14004 18007904
	v_pk_mul_f32 v[6:7], v[6:7], s[60:61]                      // 000000004EA0: D3B14006 18007906
	v_exp_f32_e32 v4, v4                                       // 000000004EA8: 7E084104
	v_exp_f32_e32 v5, v5                                       // 000000004EAC: 7E0A4105
	v_exp_f32_e32 v6, v6                                       // 000000004EB0: 7E0C4106
	v_exp_f32_e32 v7, v7                                       // 000000004EB4: 7E0E4107
	v_add_f32_e64 v4, v4, 1.0                                  // 000000004EB8: D1010004 0001E504
	v_add_f32_e64 v5, v5, 1.0                                  // 000000004EC0: D1010005 0001E505
	v_add_f32_e64 v6, v6, 1.0                                  // 000000004EC8: D1010006 0001E506
	v_add_f32_e64 v7, v7, 1.0                                  // 000000004ED0: D1010007 0001E507
	v_rcp_f32_e32 v4, v4                                       // 000000004ED8: 7E084504
	v_rcp_f32_e32 v5, v5                                       // 000000004EDC: 7E0A4505
	v_rcp_f32_e32 v6, v6                                       // 000000004EE0: 7E0C4506
	v_rcp_f32_e32 v7, v7                                       // 000000004EE4: 7E0E4507
	v_mul_f32_e32 v116, v116, v4                               // 000000004EE8: 0AE80974
	v_mul_f32_e32 v117, v117, v5                               // 000000004EEC: 0AEA0B75
	v_mul_f32_e32 v118, v118, v6                               // 000000004EF0: 0AEC0D76
	v_mul_f32_e32 v119, v119, v7                               // 000000004EF4: 0AEE0F77
	v_mul_f32_e32 v116, v116, v172                             // 000000004EF8: 0AE95974
	v_mul_f32_e32 v117, v117, v173                             // 000000004EFC: 0AEB5B75
	v_mul_f32_e32 v118, v118, v174                             // 000000004F00: 0AED5D76
	v_mul_f32_e32 v119, v119, v175                             // 000000004F04: 0AEF5F77
	v_pk_mul_f32 v[4:5], v[120:121], v[120:121]                // 000000004F08: D3B14004 1802F178
	v_pk_mul_f32 v[6:7], v[122:123], v[122:123]                // 000000004F10: D3B14006 1802F57A
	v_pk_fma_f32 v[4:5], v[4:5], s[78:79], v[8:9]              // 000000004F18: D3B04004 1C209D04
	v_pk_fma_f32 v[6:7], v[6:7], s[78:79], v[8:9]              // 000000004F20: D3B04006 1C209D06
	v_pk_mul_f32 v[4:5], v[4:5], v[120:121]                    // 000000004F28: D3B14004 1802F104
	v_pk_mul_f32 v[6:7], v[6:7], v[122:123]                    // 000000004F30: D3B14006 1802F506
	v_pk_mul_f32 v[4:5], v[4:5], s[60:61]                      // 000000004F38: D3B14004 18007904
	v_pk_mul_f32 v[6:7], v[6:7], s[60:61]                      // 000000004F40: D3B14006 18007906
	v_exp_f32_e32 v4, v4                                       // 000000004F48: 7E084104
	v_exp_f32_e32 v5, v5                                       // 000000004F4C: 7E0A4105
	v_exp_f32_e32 v6, v6                                       // 000000004F50: 7E0C4106
	v_exp_f32_e32 v7, v7                                       // 000000004F54: 7E0E4107
	v_add_f32_e64 v4, v4, 1.0                                  // 000000004F58: D1010004 0001E504
	v_add_f32_e64 v5, v5, 1.0                                  // 000000004F60: D1010005 0001E505
	v_add_f32_e64 v6, v6, 1.0                                  // 000000004F68: D1010006 0001E506
	v_add_f32_e64 v7, v7, 1.0                                  // 000000004F70: D1010007 0001E507
	v_rcp_f32_e32 v4, v4                                       // 000000004F78: 7E084504
	v_rcp_f32_e32 v5, v5                                       // 000000004F7C: 7E0A4505
	v_rcp_f32_e32 v6, v6                                       // 000000004F80: 7E0C4506
	v_rcp_f32_e32 v7, v7                                       // 000000004F84: 7E0E4507
	v_mul_f32_e32 v120, v120, v4                               // 000000004F88: 0AF00978
	v_mul_f32_e32 v121, v121, v5                               // 000000004F8C: 0AF20B79
	v_mul_f32_e32 v122, v122, v6                               // 000000004F90: 0AF40D7A
	v_mul_f32_e32 v123, v123, v7                               // 000000004F94: 0AF60F7B
	v_mul_f32_e32 v120, v120, v176                             // 000000004F98: 0AF16178
	v_mul_f32_e32 v121, v121, v177                             // 000000004F9C: 0AF36379
	v_mul_f32_e32 v122, v122, v178                             // 000000004FA0: 0AF5657A
	v_mul_f32_e32 v123, v123, v179                             // 000000004FA4: 0AF7677B
	v_pk_mul_f32 v[4:5], v[124:125], v[124:125]                // 000000004FA8: D3B14004 1802F97C
	v_pk_mul_f32 v[6:7], v[126:127], v[126:127]                // 000000004FB0: D3B14006 1802FD7E
	v_pk_fma_f32 v[4:5], v[4:5], s[78:79], v[8:9]              // 000000004FB8: D3B04004 1C209D04
	v_pk_fma_f32 v[6:7], v[6:7], s[78:79], v[8:9]              // 000000004FC0: D3B04006 1C209D06
	v_pk_mul_f32 v[4:5], v[4:5], v[124:125]                    // 000000004FC8: D3B14004 1802F904
	v_pk_mul_f32 v[6:7], v[6:7], v[126:127]                    // 000000004FD0: D3B14006 1802FD06
	v_pk_mul_f32 v[4:5], v[4:5], s[60:61]                      // 000000004FD8: D3B14004 18007904
	v_pk_mul_f32 v[6:7], v[6:7], s[60:61]                      // 000000004FE0: D3B14006 18007906
	v_exp_f32_e32 v4, v4                                       // 000000004FE8: 7E084104
	v_exp_f32_e32 v5, v5                                       // 000000004FEC: 7E0A4105
	v_exp_f32_e32 v6, v6                                       // 000000004FF0: 7E0C4106
	v_exp_f32_e32 v7, v7                                       // 000000004FF4: 7E0E4107
	v_add_f32_e64 v4, v4, 1.0                                  // 000000004FF8: D1010004 0001E504
	v_add_f32_e64 v5, v5, 1.0                                  // 000000005000: D1010005 0001E505
	v_add_f32_e64 v6, v6, 1.0                                  // 000000005008: D1010006 0001E506
	v_add_f32_e64 v7, v7, 1.0                                  // 000000005010: D1010007 0001E507
	v_rcp_f32_e32 v4, v4                                       // 000000005018: 7E084504
	v_rcp_f32_e32 v5, v5                                       // 00000000501C: 7E0A4505
	v_rcp_f32_e32 v6, v6                                       // 000000005020: 7E0C4506
	v_rcp_f32_e32 v7, v7                                       // 000000005024: 7E0E4507
	v_mul_f32_e32 v124, v124, v4                               // 000000005028: 0AF8097C
	v_mul_f32_e32 v125, v125, v5                               // 00000000502C: 0AFA0B7D
	v_mul_f32_e32 v126, v126, v6                               // 000000005030: 0AFC0D7E
	v_mul_f32_e32 v127, v127, v7                               // 000000005034: 0AFE0F7F
	v_mul_f32_e32 v124, v124, v180                             // 000000005038: 0AF9697C
	v_mul_f32_e32 v125, v125, v181                             // 00000000503C: 0AFB6B7D
	v_mul_f32_e32 v126, v126, v182                             // 000000005040: 0AFD6D7E
	v_mul_f32_e32 v127, v127, v183                             // 000000005044: 0AFF6F7F
	s_branch label_0B53                                        // 000000005048: BF8201C0

000000000000504c <label_0993>:
	v_mul_f32_e64 v4, -v72, s6                                 // 00000000504C: D1050004 20000D48
	v_mul_f32_e64 v5, -v73, s6                                 // 000000005054: D1050005 20000D49
	v_mul_f32_e64 v6, -v74, s6                                 // 00000000505C: D1050006 20000D4A
	v_mul_f32_e64 v7, -v75, s6                                 // 000000005064: D1050007 20000D4B
	v_exp_f32_e32 v4, v4                                       // 00000000506C: 7E084104
	v_exp_f32_e32 v5, v5                                       // 000000005070: 7E0A4105
	v_exp_f32_e32 v6, v6                                       // 000000005074: 7E0C4106
	v_exp_f32_e32 v7, v7                                       // 000000005078: 7E0E4107
	v_add_f32_e64 v4, v4, 1.0                                  // 00000000507C: D1010004 0001E504
	v_add_f32_e64 v5, v5, 1.0                                  // 000000005084: D1010005 0001E505
	v_add_f32_e64 v6, v6, 1.0                                  // 00000000508C: D1010006 0001E506
	v_add_f32_e64 v7, v7, 1.0                                  // 000000005094: D1010007 0001E507
	v_rcp_f32_e32 v4, v4                                       // 00000000509C: 7E084504
	v_rcp_f32_e32 v5, v5                                       // 0000000050A0: 7E0A4505
	v_rcp_f32_e32 v6, v6                                       // 0000000050A4: 7E0C4506
	v_rcp_f32_e32 v7, v7                                       // 0000000050A8: 7E0E4507
	v_mul_f32_e32 v72, v72, v4                                 // 0000000050AC: 0A900948
	v_mul_f32_e32 v73, v73, v5                                 // 0000000050B0: 0A920B49
	v_mul_f32_e32 v74, v74, v6                                 // 0000000050B4: 0A940D4A
	v_mul_f32_e32 v75, v75, v7                                 // 0000000050B8: 0A960F4B
	v_mul_f32_e32 v72, v72, v128                               // 0000000050BC: 0A910148
	v_mul_f32_e32 v73, v73, v129                               // 0000000050C0: 0A930349
	v_mul_f32_e32 v74, v74, v130                               // 0000000050C4: 0A95054A
	v_mul_f32_e32 v75, v75, v131                               // 0000000050C8: 0A97074B
	v_mul_f32_e64 v4, -v76, s6                                 // 0000000050CC: D1050004 20000D4C
	v_mul_f32_e64 v5, -v77, s6                                 // 0000000050D4: D1050005 20000D4D
	v_mul_f32_e64 v6, -v78, s6                                 // 0000000050DC: D1050006 20000D4E
	v_mul_f32_e64 v7, -v79, s6                                 // 0000000050E4: D1050007 20000D4F
	v_exp_f32_e32 v4, v4                                       // 0000000050EC: 7E084104
	v_exp_f32_e32 v5, v5                                       // 0000000050F0: 7E0A4105
	v_exp_f32_e32 v6, v6                                       // 0000000050F4: 7E0C4106
	v_exp_f32_e32 v7, v7                                       // 0000000050F8: 7E0E4107
	v_add_f32_e64 v4, v4, 1.0                                  // 0000000050FC: D1010004 0001E504
	v_add_f32_e64 v5, v5, 1.0                                  // 000000005104: D1010005 0001E505
	v_add_f32_e64 v6, v6, 1.0                                  // 00000000510C: D1010006 0001E506
	v_add_f32_e64 v7, v7, 1.0                                  // 000000005114: D1010007 0001E507
	v_rcp_f32_e32 v4, v4                                       // 00000000511C: 7E084504
	v_rcp_f32_e32 v5, v5                                       // 000000005120: 7E0A4505
	v_rcp_f32_e32 v6, v6                                       // 000000005124: 7E0C4506
	v_rcp_f32_e32 v7, v7                                       // 000000005128: 7E0E4507
	v_mul_f32_e32 v76, v76, v4                                 // 00000000512C: 0A98094C
	v_mul_f32_e32 v77, v77, v5                                 // 000000005130: 0A9A0B4D
	v_mul_f32_e32 v78, v78, v6                                 // 000000005134: 0A9C0D4E
	v_mul_f32_e32 v79, v79, v7                                 // 000000005138: 0A9E0F4F
	v_mul_f32_e32 v76, v76, v132                               // 00000000513C: 0A99094C
	v_mul_f32_e32 v77, v77, v133                               // 000000005140: 0A9B0B4D
	v_mul_f32_e32 v78, v78, v134                               // 000000005144: 0A9D0D4E
	v_mul_f32_e32 v79, v79, v135                               // 000000005148: 0A9F0F4F
	v_mul_f32_e64 v4, -v80, s6                                 // 00000000514C: D1050004 20000D50
	v_mul_f32_e64 v5, -v81, s6                                 // 000000005154: D1050005 20000D51
	v_mul_f32_e64 v6, -v82, s6                                 // 00000000515C: D1050006 20000D52
	v_mul_f32_e64 v7, -v83, s6                                 // 000000005164: D1050007 20000D53
	v_exp_f32_e32 v4, v4                                       // 00000000516C: 7E084104
	v_exp_f32_e32 v5, v5                                       // 000000005170: 7E0A4105
	v_exp_f32_e32 v6, v6                                       // 000000005174: 7E0C4106
	v_exp_f32_e32 v7, v7                                       // 000000005178: 7E0E4107
	v_add_f32_e64 v4, v4, 1.0                                  // 00000000517C: D1010004 0001E504
	v_add_f32_e64 v5, v5, 1.0                                  // 000000005184: D1010005 0001E505
	v_add_f32_e64 v6, v6, 1.0                                  // 00000000518C: D1010006 0001E506
	v_add_f32_e64 v7, v7, 1.0                                  // 000000005194: D1010007 0001E507
	v_rcp_f32_e32 v4, v4                                       // 00000000519C: 7E084504
	v_rcp_f32_e32 v5, v5                                       // 0000000051A0: 7E0A4505
	v_rcp_f32_e32 v6, v6                                       // 0000000051A4: 7E0C4506
	v_rcp_f32_e32 v7, v7                                       // 0000000051A8: 7E0E4507
	v_mul_f32_e32 v80, v80, v4                                 // 0000000051AC: 0AA00950
	v_mul_f32_e32 v81, v81, v5                                 // 0000000051B0: 0AA20B51
	v_mul_f32_e32 v82, v82, v6                                 // 0000000051B4: 0AA40D52
	v_mul_f32_e32 v83, v83, v7                                 // 0000000051B8: 0AA60F53
	v_mul_f32_e32 v80, v80, v136                               // 0000000051BC: 0AA11150
	v_mul_f32_e32 v81, v81, v137                               // 0000000051C0: 0AA31351
	v_mul_f32_e32 v82, v82, v138                               // 0000000051C4: 0AA51552
	v_mul_f32_e32 v83, v83, v139                               // 0000000051C8: 0AA71753
	v_mul_f32_e64 v4, -v84, s6                                 // 0000000051CC: D1050004 20000D54
	v_mul_f32_e64 v5, -v85, s6                                 // 0000000051D4: D1050005 20000D55
	v_mul_f32_e64 v6, -v86, s6                                 // 0000000051DC: D1050006 20000D56
	v_mul_f32_e64 v7, -v87, s6                                 // 0000000051E4: D1050007 20000D57
	v_exp_f32_e32 v4, v4                                       // 0000000051EC: 7E084104
	v_exp_f32_e32 v5, v5                                       // 0000000051F0: 7E0A4105
	v_exp_f32_e32 v6, v6                                       // 0000000051F4: 7E0C4106
	v_exp_f32_e32 v7, v7                                       // 0000000051F8: 7E0E4107
	v_add_f32_e64 v4, v4, 1.0                                  // 0000000051FC: D1010004 0001E504
	v_add_f32_e64 v5, v5, 1.0                                  // 000000005204: D1010005 0001E505
	v_add_f32_e64 v6, v6, 1.0                                  // 00000000520C: D1010006 0001E506
	v_add_f32_e64 v7, v7, 1.0                                  // 000000005214: D1010007 0001E507
	v_rcp_f32_e32 v4, v4                                       // 00000000521C: 7E084504
	v_rcp_f32_e32 v5, v5                                       // 000000005220: 7E0A4505
	v_rcp_f32_e32 v6, v6                                       // 000000005224: 7E0C4506
	v_rcp_f32_e32 v7, v7                                       // 000000005228: 7E0E4507
	v_mul_f32_e32 v84, v84, v4                                 // 00000000522C: 0AA80954
	v_mul_f32_e32 v85, v85, v5                                 // 000000005230: 0AAA0B55
	v_mul_f32_e32 v86, v86, v6                                 // 000000005234: 0AAC0D56
	v_mul_f32_e32 v87, v87, v7                                 // 000000005238: 0AAE0F57
	v_mul_f32_e32 v84, v84, v140                               // 00000000523C: 0AA91954
	v_mul_f32_e32 v85, v85, v141                               // 000000005240: 0AAB1B55
	v_mul_f32_e32 v86, v86, v142                               // 000000005244: 0AAD1D56
	v_mul_f32_e32 v87, v87, v143                               // 000000005248: 0AAF1F57
	v_mul_f32_e64 v4, -v88, s6                                 // 00000000524C: D1050004 20000D58
	v_mul_f32_e64 v5, -v89, s6                                 // 000000005254: D1050005 20000D59
	v_mul_f32_e64 v6, -v90, s6                                 // 00000000525C: D1050006 20000D5A
	v_mul_f32_e64 v7, -v91, s6                                 // 000000005264: D1050007 20000D5B
	v_exp_f32_e32 v4, v4                                       // 00000000526C: 7E084104
	v_exp_f32_e32 v5, v5                                       // 000000005270: 7E0A4105
	v_exp_f32_e32 v6, v6                                       // 000000005274: 7E0C4106
	v_exp_f32_e32 v7, v7                                       // 000000005278: 7E0E4107
	v_add_f32_e64 v4, v4, 1.0                                  // 00000000527C: D1010004 0001E504
	v_add_f32_e64 v5, v5, 1.0                                  // 000000005284: D1010005 0001E505
	v_add_f32_e64 v6, v6, 1.0                                  // 00000000528C: D1010006 0001E506
	v_add_f32_e64 v7, v7, 1.0                                  // 000000005294: D1010007 0001E507
	v_rcp_f32_e32 v4, v4                                       // 00000000529C: 7E084504
	v_rcp_f32_e32 v5, v5                                       // 0000000052A0: 7E0A4505
	v_rcp_f32_e32 v6, v6                                       // 0000000052A4: 7E0C4506
	v_rcp_f32_e32 v7, v7                                       // 0000000052A8: 7E0E4507
	v_mul_f32_e32 v88, v88, v4                                 // 0000000052AC: 0AB00958
	v_mul_f32_e32 v89, v89, v5                                 // 0000000052B0: 0AB20B59
	v_mul_f32_e32 v90, v90, v6                                 // 0000000052B4: 0AB40D5A
	v_mul_f32_e32 v91, v91, v7                                 // 0000000052B8: 0AB60F5B
	v_mul_f32_e32 v88, v88, v144                               // 0000000052BC: 0AB12158
	v_mul_f32_e32 v89, v89, v145                               // 0000000052C0: 0AB32359
	v_mul_f32_e32 v90, v90, v146                               // 0000000052C4: 0AB5255A
	v_mul_f32_e32 v91, v91, v147                               // 0000000052C8: 0AB7275B
	v_mul_f32_e64 v4, -v92, s6                                 // 0000000052CC: D1050004 20000D5C
	v_mul_f32_e64 v5, -v93, s6                                 // 0000000052D4: D1050005 20000D5D
	v_mul_f32_e64 v6, -v94, s6                                 // 0000000052DC: D1050006 20000D5E
	v_mul_f32_e64 v7, -v95, s6                                 // 0000000052E4: D1050007 20000D5F
	v_exp_f32_e32 v4, v4                                       // 0000000052EC: 7E084104
	v_exp_f32_e32 v5, v5                                       // 0000000052F0: 7E0A4105
	v_exp_f32_e32 v6, v6                                       // 0000000052F4: 7E0C4106
	v_exp_f32_e32 v7, v7                                       // 0000000052F8: 7E0E4107
	v_add_f32_e64 v4, v4, 1.0                                  // 0000000052FC: D1010004 0001E504
	v_add_f32_e64 v5, v5, 1.0                                  // 000000005304: D1010005 0001E505
	v_add_f32_e64 v6, v6, 1.0                                  // 00000000530C: D1010006 0001E506
	v_add_f32_e64 v7, v7, 1.0                                  // 000000005314: D1010007 0001E507
	v_rcp_f32_e32 v4, v4                                       // 00000000531C: 7E084504
	v_rcp_f32_e32 v5, v5                                       // 000000005320: 7E0A4505
	v_rcp_f32_e32 v6, v6                                       // 000000005324: 7E0C4506
	v_rcp_f32_e32 v7, v7                                       // 000000005328: 7E0E4507
	v_mul_f32_e32 v92, v92, v4                                 // 00000000532C: 0AB8095C
	v_mul_f32_e32 v93, v93, v5                                 // 000000005330: 0ABA0B5D
	v_mul_f32_e32 v94, v94, v6                                 // 000000005334: 0ABC0D5E
	v_mul_f32_e32 v95, v95, v7                                 // 000000005338: 0ABE0F5F
	v_mul_f32_e32 v92, v92, v148                               // 00000000533C: 0AB9295C
	v_mul_f32_e32 v93, v93, v149                               // 000000005340: 0ABB2B5D
	v_mul_f32_e32 v94, v94, v150                               // 000000005344: 0ABD2D5E
	v_mul_f32_e32 v95, v95, v151                               // 000000005348: 0ABF2F5F
	v_mul_f32_e64 v4, -v96, s6                                 // 00000000534C: D1050004 20000D60
	v_mul_f32_e64 v5, -v97, s6                                 // 000000005354: D1050005 20000D61
	v_mul_f32_e64 v6, -v98, s6                                 // 00000000535C: D1050006 20000D62
	v_mul_f32_e64 v7, -v99, s6                                 // 000000005364: D1050007 20000D63
	v_exp_f32_e32 v4, v4                                       // 00000000536C: 7E084104
	v_exp_f32_e32 v5, v5                                       // 000000005370: 7E0A4105
	v_exp_f32_e32 v6, v6                                       // 000000005374: 7E0C4106
	v_exp_f32_e32 v7, v7                                       // 000000005378: 7E0E4107
	v_add_f32_e64 v4, v4, 1.0                                  // 00000000537C: D1010004 0001E504
	v_add_f32_e64 v5, v5, 1.0                                  // 000000005384: D1010005 0001E505
	v_add_f32_e64 v6, v6, 1.0                                  // 00000000538C: D1010006 0001E506
	v_add_f32_e64 v7, v7, 1.0                                  // 000000005394: D1010007 0001E507
	v_rcp_f32_e32 v4, v4                                       // 00000000539C: 7E084504
	v_rcp_f32_e32 v5, v5                                       // 0000000053A0: 7E0A4505
	v_rcp_f32_e32 v6, v6                                       // 0000000053A4: 7E0C4506
	v_rcp_f32_e32 v7, v7                                       // 0000000053A8: 7E0E4507
	v_mul_f32_e32 v96, v96, v4                                 // 0000000053AC: 0AC00960
	v_mul_f32_e32 v97, v97, v5                                 // 0000000053B0: 0AC20B61
	v_mul_f32_e32 v98, v98, v6                                 // 0000000053B4: 0AC40D62
	v_mul_f32_e32 v99, v99, v7                                 // 0000000053B8: 0AC60F63
	v_mul_f32_e32 v96, v96, v152                               // 0000000053BC: 0AC13160
	v_mul_f32_e32 v97, v97, v153                               // 0000000053C0: 0AC33361
	v_mul_f32_e32 v98, v98, v154                               // 0000000053C4: 0AC53562
	v_mul_f32_e32 v99, v99, v155                               // 0000000053C8: 0AC73763
	v_mul_f32_e64 v4, -v100, s6                                // 0000000053CC: D1050004 20000D64
	v_mul_f32_e64 v5, -v101, s6                                // 0000000053D4: D1050005 20000D65
	v_mul_f32_e64 v6, -v102, s6                                // 0000000053DC: D1050006 20000D66
	v_mul_f32_e64 v7, -v103, s6                                // 0000000053E4: D1050007 20000D67
	v_exp_f32_e32 v4, v4                                       // 0000000053EC: 7E084104
	v_exp_f32_e32 v5, v5                                       // 0000000053F0: 7E0A4105
	v_exp_f32_e32 v6, v6                                       // 0000000053F4: 7E0C4106
	v_exp_f32_e32 v7, v7                                       // 0000000053F8: 7E0E4107
	v_add_f32_e64 v4, v4, 1.0                                  // 0000000053FC: D1010004 0001E504
	v_add_f32_e64 v5, v5, 1.0                                  // 000000005404: D1010005 0001E505
	v_add_f32_e64 v6, v6, 1.0                                  // 00000000540C: D1010006 0001E506
	v_add_f32_e64 v7, v7, 1.0                                  // 000000005414: D1010007 0001E507
	v_rcp_f32_e32 v4, v4                                       // 00000000541C: 7E084504
	v_rcp_f32_e32 v5, v5                                       // 000000005420: 7E0A4505
	v_rcp_f32_e32 v6, v6                                       // 000000005424: 7E0C4506
	v_rcp_f32_e32 v7, v7                                       // 000000005428: 7E0E4507
	v_mul_f32_e32 v100, v100, v4                               // 00000000542C: 0AC80964
	v_mul_f32_e32 v101, v101, v5                               // 000000005430: 0ACA0B65
	v_mul_f32_e32 v102, v102, v6                               // 000000005434: 0ACC0D66
	v_mul_f32_e32 v103, v103, v7                               // 000000005438: 0ACE0F67
	v_mul_f32_e32 v100, v100, v156                             // 00000000543C: 0AC93964
	v_mul_f32_e32 v101, v101, v157                             // 000000005440: 0ACB3B65
	v_mul_f32_e32 v102, v102, v158                             // 000000005444: 0ACD3D66
	v_mul_f32_e32 v103, v103, v159                             // 000000005448: 0ACF3F67
	v_mul_f32_e64 v4, -v104, s6                                // 00000000544C: D1050004 20000D68
	v_mul_f32_e64 v5, -v105, s6                                // 000000005454: D1050005 20000D69
	v_mul_f32_e64 v6, -v106, s6                                // 00000000545C: D1050006 20000D6A
	v_mul_f32_e64 v7, -v107, s6                                // 000000005464: D1050007 20000D6B
	v_exp_f32_e32 v4, v4                                       // 00000000546C: 7E084104
	v_exp_f32_e32 v5, v5                                       // 000000005470: 7E0A4105
	v_exp_f32_e32 v6, v6                                       // 000000005474: 7E0C4106
	v_exp_f32_e32 v7, v7                                       // 000000005478: 7E0E4107
	v_add_f32_e64 v4, v4, 1.0                                  // 00000000547C: D1010004 0001E504
	v_add_f32_e64 v5, v5, 1.0                                  // 000000005484: D1010005 0001E505
	v_add_f32_e64 v6, v6, 1.0                                  // 00000000548C: D1010006 0001E506
	v_add_f32_e64 v7, v7, 1.0                                  // 000000005494: D1010007 0001E507
	v_rcp_f32_e32 v4, v4                                       // 00000000549C: 7E084504
	v_rcp_f32_e32 v5, v5                                       // 0000000054A0: 7E0A4505
	v_rcp_f32_e32 v6, v6                                       // 0000000054A4: 7E0C4506
	v_rcp_f32_e32 v7, v7                                       // 0000000054A8: 7E0E4507
	v_mul_f32_e32 v104, v104, v4                               // 0000000054AC: 0AD00968
	v_mul_f32_e32 v105, v105, v5                               // 0000000054B0: 0AD20B69
	v_mul_f32_e32 v106, v106, v6                               // 0000000054B4: 0AD40D6A
	v_mul_f32_e32 v107, v107, v7                               // 0000000054B8: 0AD60F6B
	v_mul_f32_e32 v104, v104, v160                             // 0000000054BC: 0AD14168
	v_mul_f32_e32 v105, v105, v161                             // 0000000054C0: 0AD34369
	v_mul_f32_e32 v106, v106, v162                             // 0000000054C4: 0AD5456A
	v_mul_f32_e32 v107, v107, v163                             // 0000000054C8: 0AD7476B
	v_mul_f32_e64 v4, -v108, s6                                // 0000000054CC: D1050004 20000D6C
	v_mul_f32_e64 v5, -v109, s6                                // 0000000054D4: D1050005 20000D6D
	v_mul_f32_e64 v6, -v110, s6                                // 0000000054DC: D1050006 20000D6E
	v_mul_f32_e64 v7, -v111, s6                                // 0000000054E4: D1050007 20000D6F
	v_exp_f32_e32 v4, v4                                       // 0000000054EC: 7E084104
	v_exp_f32_e32 v5, v5                                       // 0000000054F0: 7E0A4105
	v_exp_f32_e32 v6, v6                                       // 0000000054F4: 7E0C4106
	v_exp_f32_e32 v7, v7                                       // 0000000054F8: 7E0E4107
	v_add_f32_e64 v4, v4, 1.0                                  // 0000000054FC: D1010004 0001E504
	v_add_f32_e64 v5, v5, 1.0                                  // 000000005504: D1010005 0001E505
	v_add_f32_e64 v6, v6, 1.0                                  // 00000000550C: D1010006 0001E506
	v_add_f32_e64 v7, v7, 1.0                                  // 000000005514: D1010007 0001E507
	v_rcp_f32_e32 v4, v4                                       // 00000000551C: 7E084504
	v_rcp_f32_e32 v5, v5                                       // 000000005520: 7E0A4505
	v_rcp_f32_e32 v6, v6                                       // 000000005524: 7E0C4506
	v_rcp_f32_e32 v7, v7                                       // 000000005528: 7E0E4507
	v_mul_f32_e32 v108, v108, v4                               // 00000000552C: 0AD8096C
	v_mul_f32_e32 v109, v109, v5                               // 000000005530: 0ADA0B6D
	v_mul_f32_e32 v110, v110, v6                               // 000000005534: 0ADC0D6E
	v_mul_f32_e32 v111, v111, v7                               // 000000005538: 0ADE0F6F
	v_mul_f32_e32 v108, v108, v164                             // 00000000553C: 0AD9496C
	v_mul_f32_e32 v109, v109, v165                             // 000000005540: 0ADB4B6D
	v_mul_f32_e32 v110, v110, v166                             // 000000005544: 0ADD4D6E
	v_mul_f32_e32 v111, v111, v167                             // 000000005548: 0ADF4F6F
	v_mul_f32_e64 v4, -v112, s6                                // 00000000554C: D1050004 20000D70
	v_mul_f32_e64 v5, -v113, s6                                // 000000005554: D1050005 20000D71
	v_mul_f32_e64 v6, -v114, s6                                // 00000000555C: D1050006 20000D72
	v_mul_f32_e64 v7, -v115, s6                                // 000000005564: D1050007 20000D73
	v_exp_f32_e32 v4, v4                                       // 00000000556C: 7E084104
	v_exp_f32_e32 v5, v5                                       // 000000005570: 7E0A4105
	v_exp_f32_e32 v6, v6                                       // 000000005574: 7E0C4106
	v_exp_f32_e32 v7, v7                                       // 000000005578: 7E0E4107
	v_add_f32_e64 v4, v4, 1.0                                  // 00000000557C: D1010004 0001E504
	v_add_f32_e64 v5, v5, 1.0                                  // 000000005584: D1010005 0001E505
	v_add_f32_e64 v6, v6, 1.0                                  // 00000000558C: D1010006 0001E506
	v_add_f32_e64 v7, v7, 1.0                                  // 000000005594: D1010007 0001E507
	v_rcp_f32_e32 v4, v4                                       // 00000000559C: 7E084504
	v_rcp_f32_e32 v5, v5                                       // 0000000055A0: 7E0A4505
	v_rcp_f32_e32 v6, v6                                       // 0000000055A4: 7E0C4506
	v_rcp_f32_e32 v7, v7                                       // 0000000055A8: 7E0E4507
	v_mul_f32_e32 v112, v112, v4                               // 0000000055AC: 0AE00970
	v_mul_f32_e32 v113, v113, v5                               // 0000000055B0: 0AE20B71
	v_mul_f32_e32 v114, v114, v6                               // 0000000055B4: 0AE40D72
	v_mul_f32_e32 v115, v115, v7                               // 0000000055B8: 0AE60F73
	v_mul_f32_e32 v112, v112, v168                             // 0000000055BC: 0AE15170
	v_mul_f32_e32 v113, v113, v169                             // 0000000055C0: 0AE35371
	v_mul_f32_e32 v114, v114, v170                             // 0000000055C4: 0AE55572
	v_mul_f32_e32 v115, v115, v171                             // 0000000055C8: 0AE75773
	v_mul_f32_e64 v4, -v116, s6                                // 0000000055CC: D1050004 20000D74
	v_mul_f32_e64 v5, -v117, s6                                // 0000000055D4: D1050005 20000D75
	v_mul_f32_e64 v6, -v118, s6                                // 0000000055DC: D1050006 20000D76
	v_mul_f32_e64 v7, -v119, s6                                // 0000000055E4: D1050007 20000D77
	v_exp_f32_e32 v4, v4                                       // 0000000055EC: 7E084104
	v_exp_f32_e32 v5, v5                                       // 0000000055F0: 7E0A4105
	v_exp_f32_e32 v6, v6                                       // 0000000055F4: 7E0C4106
	v_exp_f32_e32 v7, v7                                       // 0000000055F8: 7E0E4107
	v_add_f32_e64 v4, v4, 1.0                                  // 0000000055FC: D1010004 0001E504
	v_add_f32_e64 v5, v5, 1.0                                  // 000000005604: D1010005 0001E505
	v_add_f32_e64 v6, v6, 1.0                                  // 00000000560C: D1010006 0001E506
	v_add_f32_e64 v7, v7, 1.0                                  // 000000005614: D1010007 0001E507
	v_rcp_f32_e32 v4, v4                                       // 00000000561C: 7E084504
	v_rcp_f32_e32 v5, v5                                       // 000000005620: 7E0A4505
	v_rcp_f32_e32 v6, v6                                       // 000000005624: 7E0C4506
	v_rcp_f32_e32 v7, v7                                       // 000000005628: 7E0E4507
	v_mul_f32_e32 v116, v116, v4                               // 00000000562C: 0AE80974
	v_mul_f32_e32 v117, v117, v5                               // 000000005630: 0AEA0B75
	v_mul_f32_e32 v118, v118, v6                               // 000000005634: 0AEC0D76
	v_mul_f32_e32 v119, v119, v7                               // 000000005638: 0AEE0F77
	v_mul_f32_e32 v116, v116, v172                             // 00000000563C: 0AE95974
	v_mul_f32_e32 v117, v117, v173                             // 000000005640: 0AEB5B75
	v_mul_f32_e32 v118, v118, v174                             // 000000005644: 0AED5D76
	v_mul_f32_e32 v119, v119, v175                             // 000000005648: 0AEF5F77
	v_mul_f32_e64 v4, -v120, s6                                // 00000000564C: D1050004 20000D78
	v_mul_f32_e64 v5, -v121, s6                                // 000000005654: D1050005 20000D79
	v_mul_f32_e64 v6, -v122, s6                                // 00000000565C: D1050006 20000D7A
	v_mul_f32_e64 v7, -v123, s6                                // 000000005664: D1050007 20000D7B
	v_exp_f32_e32 v4, v4                                       // 00000000566C: 7E084104
	v_exp_f32_e32 v5, v5                                       // 000000005670: 7E0A4105
	v_exp_f32_e32 v6, v6                                       // 000000005674: 7E0C4106
	v_exp_f32_e32 v7, v7                                       // 000000005678: 7E0E4107
	v_add_f32_e64 v4, v4, 1.0                                  // 00000000567C: D1010004 0001E504
	v_add_f32_e64 v5, v5, 1.0                                  // 000000005684: D1010005 0001E505
	v_add_f32_e64 v6, v6, 1.0                                  // 00000000568C: D1010006 0001E506
	v_add_f32_e64 v7, v7, 1.0                                  // 000000005694: D1010007 0001E507
	v_rcp_f32_e32 v4, v4                                       // 00000000569C: 7E084504
	v_rcp_f32_e32 v5, v5                                       // 0000000056A0: 7E0A4505
	v_rcp_f32_e32 v6, v6                                       // 0000000056A4: 7E0C4506
	v_rcp_f32_e32 v7, v7                                       // 0000000056A8: 7E0E4507
	v_mul_f32_e32 v120, v120, v4                               // 0000000056AC: 0AF00978
	v_mul_f32_e32 v121, v121, v5                               // 0000000056B0: 0AF20B79
	v_mul_f32_e32 v122, v122, v6                               // 0000000056B4: 0AF40D7A
	v_mul_f32_e32 v123, v123, v7                               // 0000000056B8: 0AF60F7B
	v_mul_f32_e32 v120, v120, v176                             // 0000000056BC: 0AF16178
	v_mul_f32_e32 v121, v121, v177                             // 0000000056C0: 0AF36379
	v_mul_f32_e32 v122, v122, v178                             // 0000000056C4: 0AF5657A
	v_mul_f32_e32 v123, v123, v179                             // 0000000056C8: 0AF7677B
	v_mul_f32_e64 v4, -v124, s6                                // 0000000056CC: D1050004 20000D7C
	v_mul_f32_e64 v5, -v125, s6                                // 0000000056D4: D1050005 20000D7D
	v_mul_f32_e64 v6, -v126, s6                                // 0000000056DC: D1050006 20000D7E
	v_mul_f32_e64 v7, -v127, s6                                // 0000000056E4: D1050007 20000D7F
	v_exp_f32_e32 v4, v4                                       // 0000000056EC: 7E084104
	v_exp_f32_e32 v5, v5                                       // 0000000056F0: 7E0A4105
	v_exp_f32_e32 v6, v6                                       // 0000000056F4: 7E0C4106
	v_exp_f32_e32 v7, v7                                       // 0000000056F8: 7E0E4107
	v_add_f32_e64 v4, v4, 1.0                                  // 0000000056FC: D1010004 0001E504
	v_add_f32_e64 v5, v5, 1.0                                  // 000000005704: D1010005 0001E505
	v_add_f32_e64 v6, v6, 1.0                                  // 00000000570C: D1010006 0001E506
	v_add_f32_e64 v7, v7, 1.0                                  // 000000005714: D1010007 0001E507
	v_rcp_f32_e32 v4, v4                                       // 00000000571C: 7E084504
	v_rcp_f32_e32 v5, v5                                       // 000000005720: 7E0A4505
	v_rcp_f32_e32 v6, v6                                       // 000000005724: 7E0C4506
	v_rcp_f32_e32 v7, v7                                       // 000000005728: 7E0E4507
	v_mul_f32_e32 v124, v124, v4                               // 00000000572C: 0AF8097C
	v_mul_f32_e32 v125, v125, v5                               // 000000005730: 0AFA0B7D
	v_mul_f32_e32 v126, v126, v6                               // 000000005734: 0AFC0D7E
	v_mul_f32_e32 v127, v127, v7                               // 000000005738: 0AFE0F7F
	v_mul_f32_e32 v124, v124, v180                             // 00000000573C: 0AF9697C
	v_mul_f32_e32 v125, v125, v181                             // 000000005740: 0AFB6B7D
	v_mul_f32_e32 v126, v126, v182                             // 000000005744: 0AFD6D7E
	v_mul_f32_e32 v127, v127, v183                             // 000000005748: 0AFF6F7F

000000000000574c <label_0B53>:
	v_cmp_u_f32_e64 s[46:47], v72, v72                         // 00000000574C: D048002E 00029148
	v_add3_u32 v16, v72, v19, 1                                // 000000005754: D1FF0010 02062748
	v_cndmask_b32_e64 v4, v16, v18, s[46:47]                   // 00000000575C: D1000004 00BA2510
	v_cmp_u_f32_e64 s[46:47], v73, v73                         // 000000005764: D048002E 00029349
	v_add3_u32 v16, v73, v19, 1                                // 00000000576C: D1FF0010 02062749
	v_cndmask_b32_e64 v5, v16, v18, s[46:47]                   // 000000005774: D1000005 00BA2510
	v_perm_b32 v72, v5, v4, s52                                // 00000000577C: D1ED0048 00D20905
	v_cmp_u_f32_e64 s[46:47], v74, v74                         // 000000005784: D048002E 0002954A
	v_add3_u32 v16, v74, v19, 1                                // 00000000578C: D1FF0010 0206274A
	v_cndmask_b32_e64 v4, v16, v18, s[46:47]                   // 000000005794: D1000004 00BA2510
	v_cmp_u_f32_e64 s[46:47], v75, v75                         // 00000000579C: D048002E 0002974B
	v_add3_u32 v16, v75, v19, 1                                // 0000000057A4: D1FF0010 0206274B
	v_cndmask_b32_e64 v5, v16, v18, s[46:47]                   // 0000000057AC: D1000005 00BA2510
	v_perm_b32 v73, v5, v4, s52                                // 0000000057B4: D1ED0049 00D20905
	v_cmp_u_f32_e64 s[46:47], v76, v76                         // 0000000057BC: D048002E 0002994C
	v_add3_u32 v16, v76, v19, 1                                // 0000000057C4: D1FF0010 0206274C
	v_cndmask_b32_e64 v4, v16, v18, s[46:47]                   // 0000000057CC: D1000004 00BA2510
	v_cmp_u_f32_e64 s[46:47], v77, v77                         // 0000000057D4: D048002E 00029B4D
	v_add3_u32 v16, v77, v19, 1                                // 0000000057DC: D1FF0010 0206274D
	v_cndmask_b32_e64 v5, v16, v18, s[46:47]                   // 0000000057E4: D1000005 00BA2510
	v_perm_b32 v74, v5, v4, s52                                // 0000000057EC: D1ED004A 00D20905
	v_cmp_u_f32_e64 s[46:47], v78, v78                         // 0000000057F4: D048002E 00029D4E
	v_add3_u32 v16, v78, v19, 1                                // 0000000057FC: D1FF0010 0206274E
	v_cndmask_b32_e64 v4, v16, v18, s[46:47]                   // 000000005804: D1000004 00BA2510
	v_cmp_u_f32_e64 s[46:47], v79, v79                         // 00000000580C: D048002E 00029F4F
	v_add3_u32 v16, v79, v19, 1                                // 000000005814: D1FF0010 0206274F
	v_cndmask_b32_e64 v5, v16, v18, s[46:47]                   // 00000000581C: D1000005 00BA2510
	v_perm_b32 v75, v5, v4, s52                                // 000000005824: D1ED004B 00D20905
	v_cmp_u_f32_e64 s[46:47], v80, v80                         // 00000000582C: D048002E 0002A150
	v_add3_u32 v16, v80, v19, 1                                // 000000005834: D1FF0010 02062750
	v_cndmask_b32_e64 v4, v16, v18, s[46:47]                   // 00000000583C: D1000004 00BA2510
	v_cmp_u_f32_e64 s[46:47], v81, v81                         // 000000005844: D048002E 0002A351
	v_add3_u32 v16, v81, v19, 1                                // 00000000584C: D1FF0010 02062751
	v_cndmask_b32_e64 v5, v16, v18, s[46:47]                   // 000000005854: D1000005 00BA2510
	v_perm_b32 v76, v5, v4, s52                                // 00000000585C: D1ED004C 00D20905
	v_cmp_u_f32_e64 s[46:47], v82, v82                         // 000000005864: D048002E 0002A552
	v_add3_u32 v16, v82, v19, 1                                // 00000000586C: D1FF0010 02062752
	v_cndmask_b32_e64 v4, v16, v18, s[46:47]                   // 000000005874: D1000004 00BA2510
	v_cmp_u_f32_e64 s[46:47], v83, v83                         // 00000000587C: D048002E 0002A753
	v_add3_u32 v16, v83, v19, 1                                // 000000005884: D1FF0010 02062753
	v_cndmask_b32_e64 v5, v16, v18, s[46:47]                   // 00000000588C: D1000005 00BA2510
	v_perm_b32 v77, v5, v4, s52                                // 000000005894: D1ED004D 00D20905
	v_cmp_u_f32_e64 s[46:47], v84, v84                         // 00000000589C: D048002E 0002A954
	v_add3_u32 v16, v84, v19, 1                                // 0000000058A4: D1FF0010 02062754
	v_cndmask_b32_e64 v4, v16, v18, s[46:47]                   // 0000000058AC: D1000004 00BA2510
	v_cmp_u_f32_e64 s[46:47], v85, v85                         // 0000000058B4: D048002E 0002AB55
	v_add3_u32 v16, v85, v19, 1                                // 0000000058BC: D1FF0010 02062755
	v_cndmask_b32_e64 v5, v16, v18, s[46:47]                   // 0000000058C4: D1000005 00BA2510
	v_perm_b32 v78, v5, v4, s52                                // 0000000058CC: D1ED004E 00D20905
	v_cmp_u_f32_e64 s[46:47], v86, v86                         // 0000000058D4: D048002E 0002AD56
	v_add3_u32 v16, v86, v19, 1                                // 0000000058DC: D1FF0010 02062756
	v_cndmask_b32_e64 v4, v16, v18, s[46:47]                   // 0000000058E4: D1000004 00BA2510
	v_cmp_u_f32_e64 s[46:47], v87, v87                         // 0000000058EC: D048002E 0002AF57
	v_add3_u32 v16, v87, v19, 1                                // 0000000058F4: D1FF0010 02062757
	v_cndmask_b32_e64 v5, v16, v18, s[46:47]                   // 0000000058FC: D1000005 00BA2510
	v_perm_b32 v79, v5, v4, s52                                // 000000005904: D1ED004F 00D20905
	v_cmp_u_f32_e64 s[46:47], v88, v88                         // 00000000590C: D048002E 0002B158
	v_add3_u32 v16, v88, v19, 1                                // 000000005914: D1FF0010 02062758
	v_cndmask_b32_e64 v4, v16, v18, s[46:47]                   // 00000000591C: D1000004 00BA2510
	v_cmp_u_f32_e64 s[46:47], v89, v89                         // 000000005924: D048002E 0002B359
	v_add3_u32 v16, v89, v19, 1                                // 00000000592C: D1FF0010 02062759
	v_cndmask_b32_e64 v5, v16, v18, s[46:47]                   // 000000005934: D1000005 00BA2510
	v_perm_b32 v80, v5, v4, s52                                // 00000000593C: D1ED0050 00D20905
	v_cmp_u_f32_e64 s[46:47], v90, v90                         // 000000005944: D048002E 0002B55A
	v_add3_u32 v16, v90, v19, 1                                // 00000000594C: D1FF0010 0206275A
	v_cndmask_b32_e64 v4, v16, v18, s[46:47]                   // 000000005954: D1000004 00BA2510
	v_cmp_u_f32_e64 s[46:47], v91, v91                         // 00000000595C: D048002E 0002B75B
	v_add3_u32 v16, v91, v19, 1                                // 000000005964: D1FF0010 0206275B
	v_cndmask_b32_e64 v5, v16, v18, s[46:47]                   // 00000000596C: D1000005 00BA2510
	v_perm_b32 v81, v5, v4, s52                                // 000000005974: D1ED0051 00D20905
	v_cmp_u_f32_e64 s[46:47], v92, v92                         // 00000000597C: D048002E 0002B95C
	v_add3_u32 v16, v92, v19, 1                                // 000000005984: D1FF0010 0206275C
	v_cndmask_b32_e64 v4, v16, v18, s[46:47]                   // 00000000598C: D1000004 00BA2510
	v_cmp_u_f32_e64 s[46:47], v93, v93                         // 000000005994: D048002E 0002BB5D
	v_add3_u32 v16, v93, v19, 1                                // 00000000599C: D1FF0010 0206275D
	v_cndmask_b32_e64 v5, v16, v18, s[46:47]                   // 0000000059A4: D1000005 00BA2510
	v_perm_b32 v82, v5, v4, s52                                // 0000000059AC: D1ED0052 00D20905
	v_cmp_u_f32_e64 s[46:47], v94, v94                         // 0000000059B4: D048002E 0002BD5E
	v_add3_u32 v16, v94, v19, 1                                // 0000000059BC: D1FF0010 0206275E
	v_cndmask_b32_e64 v4, v16, v18, s[46:47]                   // 0000000059C4: D1000004 00BA2510
	v_cmp_u_f32_e64 s[46:47], v95, v95                         // 0000000059CC: D048002E 0002BF5F
	v_add3_u32 v16, v95, v19, 1                                // 0000000059D4: D1FF0010 0206275F
	v_cndmask_b32_e64 v5, v16, v18, s[46:47]                   // 0000000059DC: D1000005 00BA2510
	v_perm_b32 v83, v5, v4, s52                                // 0000000059E4: D1ED0053 00D20905
	v_cmp_u_f32_e64 s[46:47], v96, v96                         // 0000000059EC: D048002E 0002C160
	v_add3_u32 v16, v96, v19, 1                                // 0000000059F4: D1FF0010 02062760
	v_cndmask_b32_e64 v4, v16, v18, s[46:47]                   // 0000000059FC: D1000004 00BA2510
	v_cmp_u_f32_e64 s[46:47], v97, v97                         // 000000005A04: D048002E 0002C361
	v_add3_u32 v16, v97, v19, 1                                // 000000005A0C: D1FF0010 02062761
	v_cndmask_b32_e64 v5, v16, v18, s[46:47]                   // 000000005A14: D1000005 00BA2510
	v_perm_b32 v84, v5, v4, s52                                // 000000005A1C: D1ED0054 00D20905
	v_cmp_u_f32_e64 s[46:47], v98, v98                         // 000000005A24: D048002E 0002C562
	v_add3_u32 v16, v98, v19, 1                                // 000000005A2C: D1FF0010 02062762
	v_cndmask_b32_e64 v4, v16, v18, s[46:47]                   // 000000005A34: D1000004 00BA2510
	v_cmp_u_f32_e64 s[46:47], v99, v99                         // 000000005A3C: D048002E 0002C763
	v_add3_u32 v16, v99, v19, 1                                // 000000005A44: D1FF0010 02062763
	v_cndmask_b32_e64 v5, v16, v18, s[46:47]                   // 000000005A4C: D1000005 00BA2510
	v_perm_b32 v85, v5, v4, s52                                // 000000005A54: D1ED0055 00D20905
	v_cmp_u_f32_e64 s[46:47], v100, v100                       // 000000005A5C: D048002E 0002C964
	v_add3_u32 v16, v100, v19, 1                               // 000000005A64: D1FF0010 02062764
	v_cndmask_b32_e64 v4, v16, v18, s[46:47]                   // 000000005A6C: D1000004 00BA2510
	v_cmp_u_f32_e64 s[46:47], v101, v101                       // 000000005A74: D048002E 0002CB65
	v_add3_u32 v16, v101, v19, 1                               // 000000005A7C: D1FF0010 02062765
	v_cndmask_b32_e64 v5, v16, v18, s[46:47]                   // 000000005A84: D1000005 00BA2510
	v_perm_b32 v86, v5, v4, s52                                // 000000005A8C: D1ED0056 00D20905
	v_cmp_u_f32_e64 s[46:47], v102, v102                       // 000000005A94: D048002E 0002CD66
	v_add3_u32 v16, v102, v19, 1                               // 000000005A9C: D1FF0010 02062766
	v_cndmask_b32_e64 v4, v16, v18, s[46:47]                   // 000000005AA4: D1000004 00BA2510
	v_cmp_u_f32_e64 s[46:47], v103, v103                       // 000000005AAC: D048002E 0002CF67
	v_add3_u32 v16, v103, v19, 1                               // 000000005AB4: D1FF0010 02062767
	v_cndmask_b32_e64 v5, v16, v18, s[46:47]                   // 000000005ABC: D1000005 00BA2510
	v_perm_b32 v87, v5, v4, s52                                // 000000005AC4: D1ED0057 00D20905
	v_cmp_u_f32_e64 s[46:47], v104, v104                       // 000000005ACC: D048002E 0002D168
	v_add3_u32 v16, v104, v19, 1                               // 000000005AD4: D1FF0010 02062768
	v_cndmask_b32_e64 v4, v16, v18, s[46:47]                   // 000000005ADC: D1000004 00BA2510
	v_cmp_u_f32_e64 s[46:47], v105, v105                       // 000000005AE4: D048002E 0002D369
	v_add3_u32 v16, v105, v19, 1                               // 000000005AEC: D1FF0010 02062769
	v_cndmask_b32_e64 v5, v16, v18, s[46:47]                   // 000000005AF4: D1000005 00BA2510
	v_perm_b32 v88, v5, v4, s52                                // 000000005AFC: D1ED0058 00D20905
	v_cmp_u_f32_e64 s[46:47], v106, v106                       // 000000005B04: D048002E 0002D56A
	v_add3_u32 v16, v106, v19, 1                               // 000000005B0C: D1FF0010 0206276A
	v_cndmask_b32_e64 v4, v16, v18, s[46:47]                   // 000000005B14: D1000004 00BA2510
	v_cmp_u_f32_e64 s[46:47], v107, v107                       // 000000005B1C: D048002E 0002D76B
	v_add3_u32 v16, v107, v19, 1                               // 000000005B24: D1FF0010 0206276B
	v_cndmask_b32_e64 v5, v16, v18, s[46:47]                   // 000000005B2C: D1000005 00BA2510
	v_perm_b32 v89, v5, v4, s52                                // 000000005B34: D1ED0059 00D20905
	v_cmp_u_f32_e64 s[46:47], v108, v108                       // 000000005B3C: D048002E 0002D96C
	v_add3_u32 v16, v108, v19, 1                               // 000000005B44: D1FF0010 0206276C
	v_cndmask_b32_e64 v4, v16, v18, s[46:47]                   // 000000005B4C: D1000004 00BA2510
	v_cmp_u_f32_e64 s[46:47], v109, v109                       // 000000005B54: D048002E 0002DB6D
	v_add3_u32 v16, v109, v19, 1                               // 000000005B5C: D1FF0010 0206276D
	v_cndmask_b32_e64 v5, v16, v18, s[46:47]                   // 000000005B64: D1000005 00BA2510
	v_perm_b32 v90, v5, v4, s52                                // 000000005B6C: D1ED005A 00D20905
	v_cmp_u_f32_e64 s[46:47], v110, v110                       // 000000005B74: D048002E 0002DD6E
	v_add3_u32 v16, v110, v19, 1                               // 000000005B7C: D1FF0010 0206276E
	v_cndmask_b32_e64 v4, v16, v18, s[46:47]                   // 000000005B84: D1000004 00BA2510
	v_cmp_u_f32_e64 s[46:47], v111, v111                       // 000000005B8C: D048002E 0002DF6F
	v_add3_u32 v16, v111, v19, 1                               // 000000005B94: D1FF0010 0206276F
	v_cndmask_b32_e64 v5, v16, v18, s[46:47]                   // 000000005B9C: D1000005 00BA2510
	v_perm_b32 v91, v5, v4, s52                                // 000000005BA4: D1ED005B 00D20905
	v_cmp_u_f32_e64 s[46:47], v112, v112                       // 000000005BAC: D048002E 0002E170
	v_add3_u32 v16, v112, v19, 1                               // 000000005BB4: D1FF0010 02062770
	v_cndmask_b32_e64 v4, v16, v18, s[46:47]                   // 000000005BBC: D1000004 00BA2510
	v_cmp_u_f32_e64 s[46:47], v113, v113                       // 000000005BC4: D048002E 0002E371
	v_add3_u32 v16, v113, v19, 1                               // 000000005BCC: D1FF0010 02062771
	v_cndmask_b32_e64 v5, v16, v18, s[46:47]                   // 000000005BD4: D1000005 00BA2510
	v_perm_b32 v92, v5, v4, s52                                // 000000005BDC: D1ED005C 00D20905
	v_cmp_u_f32_e64 s[46:47], v114, v114                       // 000000005BE4: D048002E 0002E572
	v_add3_u32 v16, v114, v19, 1                               // 000000005BEC: D1FF0010 02062772
	v_cndmask_b32_e64 v4, v16, v18, s[46:47]                   // 000000005BF4: D1000004 00BA2510
	v_cmp_u_f32_e64 s[46:47], v115, v115                       // 000000005BFC: D048002E 0002E773
	v_add3_u32 v16, v115, v19, 1                               // 000000005C04: D1FF0010 02062773
	v_cndmask_b32_e64 v5, v16, v18, s[46:47]                   // 000000005C0C: D1000005 00BA2510
	v_perm_b32 v93, v5, v4, s52                                // 000000005C14: D1ED005D 00D20905
	v_cmp_u_f32_e64 s[46:47], v116, v116                       // 000000005C1C: D048002E 0002E974
	v_add3_u32 v16, v116, v19, 1                               // 000000005C24: D1FF0010 02062774
	v_cndmask_b32_e64 v4, v16, v18, s[46:47]                   // 000000005C2C: D1000004 00BA2510
	v_cmp_u_f32_e64 s[46:47], v117, v117                       // 000000005C34: D048002E 0002EB75
	v_add3_u32 v16, v117, v19, 1                               // 000000005C3C: D1FF0010 02062775
	v_cndmask_b32_e64 v5, v16, v18, s[46:47]                   // 000000005C44: D1000005 00BA2510
	v_perm_b32 v94, v5, v4, s52                                // 000000005C4C: D1ED005E 00D20905
	v_cmp_u_f32_e64 s[46:47], v118, v118                       // 000000005C54: D048002E 0002ED76
	v_add3_u32 v16, v118, v19, 1                               // 000000005C5C: D1FF0010 02062776
	v_cndmask_b32_e64 v4, v16, v18, s[46:47]                   // 000000005C64: D1000004 00BA2510
	v_cmp_u_f32_e64 s[46:47], v119, v119                       // 000000005C6C: D048002E 0002EF77
	v_add3_u32 v16, v119, v19, 1                               // 000000005C74: D1FF0010 02062777
	v_cndmask_b32_e64 v5, v16, v18, s[46:47]                   // 000000005C7C: D1000005 00BA2510
	v_perm_b32 v95, v5, v4, s52                                // 000000005C84: D1ED005F 00D20905
	v_cmp_u_f32_e64 s[46:47], v120, v120                       // 000000005C8C: D048002E 0002F178
	v_add3_u32 v16, v120, v19, 1                               // 000000005C94: D1FF0010 02062778
	v_cndmask_b32_e64 v4, v16, v18, s[46:47]                   // 000000005C9C: D1000004 00BA2510
	v_cmp_u_f32_e64 s[46:47], v121, v121                       // 000000005CA4: D048002E 0002F379
	v_add3_u32 v16, v121, v19, 1                               // 000000005CAC: D1FF0010 02062779
	v_cndmask_b32_e64 v5, v16, v18, s[46:47]                   // 000000005CB4: D1000005 00BA2510
	v_perm_b32 v96, v5, v4, s52                                // 000000005CBC: D1ED0060 00D20905
	v_cmp_u_f32_e64 s[46:47], v122, v122                       // 000000005CC4: D048002E 0002F57A
	v_add3_u32 v16, v122, v19, 1                               // 000000005CCC: D1FF0010 0206277A
	v_cndmask_b32_e64 v4, v16, v18, s[46:47]                   // 000000005CD4: D1000004 00BA2510
	v_cmp_u_f32_e64 s[46:47], v123, v123                       // 000000005CDC: D048002E 0002F77B
	v_add3_u32 v16, v123, v19, 1                               // 000000005CE4: D1FF0010 0206277B
	v_cndmask_b32_e64 v5, v16, v18, s[46:47]                   // 000000005CEC: D1000005 00BA2510
	v_perm_b32 v97, v5, v4, s52                                // 000000005CF4: D1ED0061 00D20905
	v_cmp_u_f32_e64 s[46:47], v124, v124                       // 000000005CFC: D048002E 0002F97C
	v_add3_u32 v16, v124, v19, 1                               // 000000005D04: D1FF0010 0206277C
	v_cndmask_b32_e64 v4, v16, v18, s[46:47]                   // 000000005D0C: D1000004 00BA2510
	v_cmp_u_f32_e64 s[46:47], v125, v125                       // 000000005D14: D048002E 0002FB7D
	v_add3_u32 v16, v125, v19, 1                               // 000000005D1C: D1FF0010 0206277D
	v_cndmask_b32_e64 v5, v16, v18, s[46:47]                   // 000000005D24: D1000005 00BA2510
	v_perm_b32 v98, v5, v4, s52                                // 000000005D2C: D1ED0062 00D20905
	v_cmp_u_f32_e64 s[46:47], v126, v126                       // 000000005D34: D048002E 0002FD7E
	v_add3_u32 v16, v126, v19, 1                               // 000000005D3C: D1FF0010 0206277E
	v_cndmask_b32_e64 v4, v16, v18, s[46:47]                   // 000000005D44: D1000004 00BA2510
	v_cmp_u_f32_e64 s[46:47], v127, v127                       // 000000005D4C: D048002E 0002FF7F
	v_add3_u32 v16, v127, v19, 1                               // 000000005D54: D1FF0010 0206277F
	v_cndmask_b32_e64 v5, v16, v18, s[46:47]                   // 000000005D5C: D1000005 00BA2510
	v_perm_b32 v99, v5, v4, s52                                // 000000005D64: D1ED0063 00D20905
	ds_write_b64 v20, v[72:73]                                 // 000000005D6C: D89A0000 00004814
	ds_write_b64 v20, v[74:75] offset:4352                     // 000000005D74: D89A1100 00004A14
	ds_write_b64 v20, v[76:77] offset:8704                     // 000000005D7C: D89A2200 00004C14
	ds_write_b64 v20, v[78:79] offset:13056                    // 000000005D84: D89A3300 00004E14
	ds_write_b64 v20, v[80:81] offset:17408                    // 000000005D8C: D89A4400 00005014
	ds_write_b64 v20, v[82:83] offset:21760                    // 000000005D94: D89A5500 00005214
	ds_write_b64 v20, v[84:85] offset:26112                    // 000000005D9C: D89A6600 00005414
	ds_write_b64 v20, v[86:87] offset:2176                     // 000000005DA4: D89A0880 00005614
	ds_write_b64 v20, v[88:89] offset:6528                     // 000000005DAC: D89A1980 00005814
	ds_write_b64 v20, v[90:91] offset:10880                    // 000000005DB4: D89A2A80 00005A14
	ds_write_b64 v20, v[92:93] offset:15232                    // 000000005DBC: D89A3B80 00005C14
	ds_write_b64 v20, v[94:95] offset:19584                    // 000000005DC4: D89A4C80 00005E14
	ds_write_b64 v20, v[96:97] offset:23936                    // 000000005DCC: D89A5D80 00006014
	ds_write_b64 v20, v[98:99] offset:28288                    // 000000005DD4: D89A6E80 00006214
	v_lshrrev_b32_e32 v4, 5, v0                                // 000000005DDC: 20080085
	v_xor_b32_e32 v5, 1, v4                                    // 000000005DE0: 2A0A0881
	s_mul_i32 s60, s65, 2                                      // 000000005DE4: 923C8241
	s_cmp_eq_u32 s88, 0                                        // 000000005DE8: BF068058
	s_cselect_b32 s61, 1, 4                                    // 000000005DEC: 853D8481
	s_mul_i32 s60, s61, s60                                    // 000000005DF0: 923C3C3D
	v_readlane_b32 s82, v3, 0                                  // 000000005DF4: D2890052 00010103
	s_lshr_b32 s61, s82, 24                                    // 000000005DFC: 8F3D9852
	s_and_b32 s82, s82, 0xffffff                               // 000000005E00: 8652FF52 00FFFFFF
	s_mul_i32 s82, s82, s71                                    // 000000005E08: 92524752
	s_mul_i32 s61, s60, s61                                    // 000000005E0C: 923D3D3C
	s_add_u32 s82, s82, s61                                    // 000000005E10: 80523D52
	v_mul_lo_u32 v6, v5, s82                                   // 000000005E14: D2850006 0000A505
	v_readlane_b32 s82, v3, 1                                  // 000000005E1C: D2890052 00010303
	s_lshr_b32 s61, s82, 24                                    // 000000005E24: 8F3D9852
	s_and_b32 s82, s82, 0xffffff                               // 000000005E28: 8652FF52 00FFFFFF
	s_mul_i32 s82, s82, s71                                    // 000000005E30: 92524752
	s_mul_i32 s61, s60, s61                                    // 000000005E34: 923D3D3C
	s_add_u32 s82, s82, s61                                    // 000000005E38: 80523D52
	v_mul_lo_u32 v7, v4, s82                                   // 000000005E3C: D2850007 0000A504
	v_add_u32_e32 v56, v6, v7                                  // 000000005E44: 68700F06
	v_readlane_b32 s82, v3, 2                                  // 000000005E48: D2890052 00010503
	s_lshr_b32 s61, s82, 24                                    // 000000005E50: 8F3D9852
	s_and_b32 s82, s82, 0xffffff                               // 000000005E54: 8652FF52 00FFFFFF
	s_mul_i32 s82, s82, s71                                    // 000000005E5C: 92524752
	s_mul_i32 s61, s60, s61                                    // 000000005E60: 923D3D3C
	s_add_u32 s82, s82, s61                                    // 000000005E64: 80523D52
	v_mul_lo_u32 v6, v5, s82                                   // 000000005E68: D2850006 0000A505
	v_readlane_b32 s82, v3, 3                                  // 000000005E70: D2890052 00010703
	s_lshr_b32 s61, s82, 24                                    // 000000005E78: 8F3D9852
	s_and_b32 s82, s82, 0xffffff                               // 000000005E7C: 8652FF52 00FFFFFF
	s_mul_i32 s82, s82, s71                                    // 000000005E84: 92524752
	s_mul_i32 s61, s60, s61                                    // 000000005E88: 923D3D3C
	s_add_u32 s82, s82, s61                                    // 000000005E8C: 80523D52
	v_mul_lo_u32 v7, v4, s82                                   // 000000005E90: D2850007 0000A504
	v_add_u32_e32 v57, v6, v7                                  // 000000005E98: 68720F06
	v_readlane_b32 s82, v3, 4                                  // 000000005E9C: D2890052 00010903
	s_lshr_b32 s61, s82, 24                                    // 000000005EA4: 8F3D9852
	s_and_b32 s82, s82, 0xffffff                               // 000000005EA8: 8652FF52 00FFFFFF
	s_mul_i32 s82, s82, s71                                    // 000000005EB0: 92524752
	s_mul_i32 s61, s60, s61                                    // 000000005EB4: 923D3D3C
	s_add_u32 s82, s82, s61                                    // 000000005EB8: 80523D52
	v_mul_lo_u32 v6, v5, s82                                   // 000000005EBC: D2850006 0000A505
	v_readlane_b32 s82, v3, 5                                  // 000000005EC4: D2890052 00010B03
	s_lshr_b32 s61, s82, 24                                    // 000000005ECC: 8F3D9852
	s_and_b32 s82, s82, 0xffffff                               // 000000005ED0: 8652FF52 00FFFFFF
	s_mul_i32 s82, s82, s71                                    // 000000005ED8: 92524752
	s_mul_i32 s61, s60, s61                                    // 000000005EDC: 923D3D3C
	s_add_u32 s82, s82, s61                                    // 000000005EE0: 80523D52
	v_mul_lo_u32 v7, v4, s82                                   // 000000005EE4: D2850007 0000A504
	v_add_u32_e32 v58, v6, v7                                  // 000000005EEC: 68740F06
	v_readlane_b32 s82, v3, 6                                  // 000000005EF0: D2890052 00010D03
	s_lshr_b32 s61, s82, 24                                    // 000000005EF8: 8F3D9852
	s_and_b32 s82, s82, 0xffffff                               // 000000005EFC: 8652FF52 00FFFFFF
	s_mul_i32 s82, s82, s71                                    // 000000005F04: 92524752
	s_mul_i32 s61, s60, s61                                    // 000000005F08: 923D3D3C
	s_add_u32 s82, s82, s61                                    // 000000005F0C: 80523D52
	v_mul_lo_u32 v6, v5, s82                                   // 000000005F10: D2850006 0000A505
	v_readlane_b32 s82, v3, 7                                  // 000000005F18: D2890052 00010F03
	s_lshr_b32 s61, s82, 24                                    // 000000005F20: 8F3D9852
	s_and_b32 s82, s82, 0xffffff                               // 000000005F24: 8652FF52 00FFFFFF
	s_mul_i32 s82, s82, s71                                    // 000000005F2C: 92524752
	s_mul_i32 s61, s60, s61                                    // 000000005F30: 923D3D3C
	s_add_u32 s82, s82, s61                                    // 000000005F34: 80523D52
	v_mul_lo_u32 v7, v4, s82                                   // 000000005F38: D2850007 0000A504
	v_add_u32_e32 v59, v6, v7                                  // 000000005F40: 68760F06
	v_readlane_b32 s82, v3, 8                                  // 000000005F44: D2890052 00011103
	s_lshr_b32 s61, s82, 24                                    // 000000005F4C: 8F3D9852
	s_and_b32 s82, s82, 0xffffff                               // 000000005F50: 8652FF52 00FFFFFF
	s_mul_i32 s82, s82, s71                                    // 000000005F58: 92524752
	s_mul_i32 s61, s60, s61                                    // 000000005F5C: 923D3D3C
	s_add_u32 s82, s82, s61                                    // 000000005F60: 80523D52
	v_mul_lo_u32 v6, v5, s82                                   // 000000005F64: D2850006 0000A505
	v_readlane_b32 s82, v3, 9                                  // 000000005F6C: D2890052 00011303
	s_lshr_b32 s61, s82, 24                                    // 000000005F74: 8F3D9852
	s_and_b32 s82, s82, 0xffffff                               // 000000005F78: 8652FF52 00FFFFFF
	s_mul_i32 s82, s82, s71                                    // 000000005F80: 92524752
	s_mul_i32 s61, s60, s61                                    // 000000005F84: 923D3D3C
	s_add_u32 s82, s82, s61                                    // 000000005F88: 80523D52
	v_mul_lo_u32 v7, v4, s82                                   // 000000005F8C: D2850007 0000A504
	v_add_u32_e32 v60, v6, v7                                  // 000000005F94: 68780F06
	v_readlane_b32 s82, v3, 10                                 // 000000005F98: D2890052 00011503
	s_lshr_b32 s61, s82, 24                                    // 000000005FA0: 8F3D9852
	s_and_b32 s82, s82, 0xffffff                               // 000000005FA4: 8652FF52 00FFFFFF
	s_mul_i32 s82, s82, s71                                    // 000000005FAC: 92524752
	s_mul_i32 s61, s60, s61                                    // 000000005FB0: 923D3D3C
	s_add_u32 s82, s82, s61                                    // 000000005FB4: 80523D52
	v_mul_lo_u32 v6, v5, s82                                   // 000000005FB8: D2850006 0000A505
	v_readlane_b32 s82, v3, 11                                 // 000000005FC0: D2890052 00011703
	s_lshr_b32 s61, s82, 24                                    // 000000005FC8: 8F3D9852
	s_and_b32 s82, s82, 0xffffff                               // 000000005FCC: 8652FF52 00FFFFFF
	s_mul_i32 s82, s82, s71                                    // 000000005FD4: 92524752
	s_mul_i32 s61, s60, s61                                    // 000000005FD8: 923D3D3C
	s_add_u32 s82, s82, s61                                    // 000000005FDC: 80523D52
	v_mul_lo_u32 v7, v4, s82                                   // 000000005FE0: D2850007 0000A504
	v_add_u32_e32 v61, v6, v7                                  // 000000005FE8: 687A0F06
	v_readlane_b32 s82, v3, 12                                 // 000000005FEC: D2890052 00011903
	s_lshr_b32 s61, s82, 24                                    // 000000005FF4: 8F3D9852
	s_and_b32 s82, s82, 0xffffff                               // 000000005FF8: 8652FF52 00FFFFFF
	s_mul_i32 s82, s82, s71                                    // 000000006000: 92524752
	s_mul_i32 s61, s60, s61                                    // 000000006004: 923D3D3C
	s_add_u32 s82, s82, s61                                    // 000000006008: 80523D52
	v_mul_lo_u32 v6, v5, s82                                   // 00000000600C: D2850006 0000A505
	v_readlane_b32 s82, v3, 13                                 // 000000006014: D2890052 00011B03
	s_lshr_b32 s61, s82, 24                                    // 00000000601C: 8F3D9852
	s_and_b32 s82, s82, 0xffffff                               // 000000006020: 8652FF52 00FFFFFF
	s_mul_i32 s82, s82, s71                                    // 000000006028: 92524752
	s_mul_i32 s61, s60, s61                                    // 00000000602C: 923D3D3C
	s_add_u32 s82, s82, s61                                    // 000000006030: 80523D52
	v_mul_lo_u32 v7, v4, s82                                   // 000000006034: D2850007 0000A504
	v_add_u32_e32 v62, v6, v7                                  // 00000000603C: 687C0F06
	v_readlane_b32 s82, v3, 14                                 // 000000006040: D2890052 00011D03
	s_lshr_b32 s61, s82, 24                                    // 000000006048: 8F3D9852
	s_and_b32 s82, s82, 0xffffff                               // 00000000604C: 8652FF52 00FFFFFF
	s_mul_i32 s82, s82, s71                                    // 000000006054: 92524752
	s_mul_i32 s61, s60, s61                                    // 000000006058: 923D3D3C
	s_add_u32 s82, s82, s61                                    // 00000000605C: 80523D52
	v_mul_lo_u32 v6, v5, s82                                   // 000000006060: D2850006 0000A505
	v_readlane_b32 s82, v3, 15                                 // 000000006068: D2890052 00011F03
	s_lshr_b32 s61, s82, 24                                    // 000000006070: 8F3D9852
	s_and_b32 s82, s82, 0xffffff                               // 000000006074: 8652FF52 00FFFFFF
	s_mul_i32 s82, s82, s71                                    // 00000000607C: 92524752
	s_mul_i32 s61, s60, s61                                    // 000000006080: 923D3D3C
	s_add_u32 s82, s82, s61                                    // 000000006084: 80523D52
	v_mul_lo_u32 v7, v4, s82                                   // 000000006088: D2850007 0000A504
	v_add_u32_e32 v63, v6, v7                                  // 000000006090: 687E0F06
	v_readlane_b32 s82, v3, 16                                 // 000000006094: D2890052 00012103
	s_lshr_b32 s61, s82, 24                                    // 00000000609C: 8F3D9852
	s_and_b32 s82, s82, 0xffffff                               // 0000000060A0: 8652FF52 00FFFFFF
	s_mul_i32 s82, s82, s71                                    // 0000000060A8: 92524752
	s_mul_i32 s61, s60, s61                                    // 0000000060AC: 923D3D3C
	s_add_u32 s82, s82, s61                                    // 0000000060B0: 80523D52
	v_mul_lo_u32 v6, v5, s82                                   // 0000000060B4: D2850006 0000A505
	v_readlane_b32 s82, v3, 17                                 // 0000000060BC: D2890052 00012303
	s_lshr_b32 s61, s82, 24                                    // 0000000060C4: 8F3D9852
	s_and_b32 s82, s82, 0xffffff                               // 0000000060C8: 8652FF52 00FFFFFF
	s_mul_i32 s82, s82, s71                                    // 0000000060D0: 92524752
	s_mul_i32 s61, s60, s61                                    // 0000000060D4: 923D3D3C
	s_add_u32 s82, s82, s61                                    // 0000000060D8: 80523D52
	v_mul_lo_u32 v7, v4, s82                                   // 0000000060DC: D2850007 0000A504
	v_add_u32_e32 v64, v6, v7                                  // 0000000060E4: 68800F06
	v_readlane_b32 s82, v3, 18                                 // 0000000060E8: D2890052 00012503
	s_lshr_b32 s61, s82, 24                                    // 0000000060F0: 8F3D9852
	s_and_b32 s82, s82, 0xffffff                               // 0000000060F4: 8652FF52 00FFFFFF
	s_mul_i32 s82, s82, s71                                    // 0000000060FC: 92524752
	s_mul_i32 s61, s60, s61                                    // 000000006100: 923D3D3C
	s_add_u32 s82, s82, s61                                    // 000000006104: 80523D52
	v_mul_lo_u32 v6, v5, s82                                   // 000000006108: D2850006 0000A505
	v_readlane_b32 s82, v3, 19                                 // 000000006110: D2890052 00012703
	s_lshr_b32 s61, s82, 24                                    // 000000006118: 8F3D9852
	s_and_b32 s82, s82, 0xffffff                               // 00000000611C: 8652FF52 00FFFFFF
	s_mul_i32 s82, s82, s71                                    // 000000006124: 92524752
	s_mul_i32 s61, s60, s61                                    // 000000006128: 923D3D3C
	s_add_u32 s82, s82, s61                                    // 00000000612C: 80523D52
	v_mul_lo_u32 v7, v4, s82                                   // 000000006130: D2850007 0000A504
	v_add_u32_e32 v65, v6, v7                                  // 000000006138: 68820F06
	v_readlane_b32 s82, v3, 20                                 // 00000000613C: D2890052 00012903
	s_lshr_b32 s61, s82, 24                                    // 000000006144: 8F3D9852
	s_and_b32 s82, s82, 0xffffff                               // 000000006148: 8652FF52 00FFFFFF
	s_mul_i32 s82, s82, s71                                    // 000000006150: 92524752
	s_mul_i32 s61, s60, s61                                    // 000000006154: 923D3D3C
	s_add_u32 s82, s82, s61                                    // 000000006158: 80523D52
	v_mul_lo_u32 v6, v5, s82                                   // 00000000615C: D2850006 0000A505
	v_readlane_b32 s82, v3, 21                                 // 000000006164: D2890052 00012B03
	s_lshr_b32 s61, s82, 24                                    // 00000000616C: 8F3D9852
	s_and_b32 s82, s82, 0xffffff                               // 000000006170: 8652FF52 00FFFFFF
	s_mul_i32 s82, s82, s71                                    // 000000006178: 92524752
	s_mul_i32 s61, s60, s61                                    // 00000000617C: 923D3D3C
	s_add_u32 s82, s82, s61                                    // 000000006180: 80523D52
	v_mul_lo_u32 v7, v4, s82                                   // 000000006184: D2850007 0000A504
	v_add_u32_e32 v66, v6, v7                                  // 00000000618C: 68840F06
	v_readlane_b32 s82, v3, 22                                 // 000000006190: D2890052 00012D03
	s_lshr_b32 s61, s82, 24                                    // 000000006198: 8F3D9852
	s_and_b32 s82, s82, 0xffffff                               // 00000000619C: 8652FF52 00FFFFFF
	s_mul_i32 s82, s82, s71                                    // 0000000061A4: 92524752
	s_mul_i32 s61, s60, s61                                    // 0000000061A8: 923D3D3C
	s_add_u32 s82, s82, s61                                    // 0000000061AC: 80523D52
	v_mul_lo_u32 v6, v5, s82                                   // 0000000061B0: D2850006 0000A505
	v_readlane_b32 s82, v3, 23                                 // 0000000061B8: D2890052 00012F03
	s_lshr_b32 s61, s82, 24                                    // 0000000061C0: 8F3D9852
	s_and_b32 s82, s82, 0xffffff                               // 0000000061C4: 8652FF52 00FFFFFF
	s_mul_i32 s82, s82, s71                                    // 0000000061CC: 92524752
	s_mul_i32 s61, s60, s61                                    // 0000000061D0: 923D3D3C
	s_add_u32 s82, s82, s61                                    // 0000000061D4: 80523D52
	v_mul_lo_u32 v7, v4, s82                                   // 0000000061D8: D2850007 0000A504
	v_add_u32_e32 v67, v6, v7                                  // 0000000061E0: 68860F06
	v_readlane_b32 s82, v3, 24                                 // 0000000061E4: D2890052 00013103
	s_lshr_b32 s61, s82, 24                                    // 0000000061EC: 8F3D9852
	s_and_b32 s82, s82, 0xffffff                               // 0000000061F0: 8652FF52 00FFFFFF
	s_mul_i32 s82, s82, s71                                    // 0000000061F8: 92524752
	s_mul_i32 s61, s60, s61                                    // 0000000061FC: 923D3D3C
	s_add_u32 s82, s82, s61                                    // 000000006200: 80523D52
	v_mul_lo_u32 v6, v5, s82                                   // 000000006204: D2850006 0000A505
	v_readlane_b32 s82, v3, 25                                 // 00000000620C: D2890052 00013303
	s_lshr_b32 s61, s82, 24                                    // 000000006214: 8F3D9852
	s_and_b32 s82, s82, 0xffffff                               // 000000006218: 8652FF52 00FFFFFF
	s_mul_i32 s82, s82, s71                                    // 000000006220: 92524752
	s_mul_i32 s61, s60, s61                                    // 000000006224: 923D3D3C
	s_add_u32 s82, s82, s61                                    // 000000006228: 80523D52
	v_mul_lo_u32 v7, v4, s82                                   // 00000000622C: D2850007 0000A504
	v_add_u32_e32 v68, v6, v7                                  // 000000006234: 68880F06
	v_readlane_b32 s82, v3, 26                                 // 000000006238: D2890052 00013503
	s_lshr_b32 s61, s82, 24                                    // 000000006240: 8F3D9852
	s_and_b32 s82, s82, 0xffffff                               // 000000006244: 8652FF52 00FFFFFF
	s_mul_i32 s82, s82, s71                                    // 00000000624C: 92524752
	s_mul_i32 s61, s60, s61                                    // 000000006250: 923D3D3C
	s_add_u32 s82, s82, s61                                    // 000000006254: 80523D52
	v_mul_lo_u32 v6, v5, s82                                   // 000000006258: D2850006 0000A505
	v_readlane_b32 s82, v3, 27                                 // 000000006260: D2890052 00013703
	s_lshr_b32 s61, s82, 24                                    // 000000006268: 8F3D9852
	s_and_b32 s82, s82, 0xffffff                               // 00000000626C: 8652FF52 00FFFFFF
	s_mul_i32 s82, s82, s71                                    // 000000006274: 92524752
	s_mul_i32 s61, s60, s61                                    // 000000006278: 923D3D3C
	s_add_u32 s82, s82, s61                                    // 00000000627C: 80523D52
	v_mul_lo_u32 v7, v4, s82                                   // 000000006280: D2850007 0000A504
	v_add_u32_e32 v69, v6, v7                                  // 000000006288: 688A0F06
	v_and_b32_e32 v4, 31, v0                                   // 00000000628C: 2608009F
	v_lshrrev_b32_e32 v4, 1, v4                                // 000000006290: 20080881
	s_cmp_eq_u32 s88, 0                                        // 000000006294: BF068058
	s_cselect_b32 s61, 2, 4                                    // 000000006298: 853D8482
	v_mul_lo_u32 v4, v4, s61                                   // 00000000629C: D2850004 00007B04
	v_and_b32_e64 v5, v0, 1                                    // 0000000062A4: D1130005 00010300
	v_add_u32_e32 v4, v4, v5                                   // 0000000062AC: 68080B04
	v_lshlrev_b32_e32 v4, 2, v4                                // 0000000062B0: 24080882
	v_add_u32_e32 v56, v56, v4                                 // 0000000062B4: 68700938
	v_add_u32_e32 v57, v57, v4                                 // 0000000062B8: 68720939
	v_add_u32_e32 v58, v58, v4                                 // 0000000062BC: 6874093A
	v_add_u32_e32 v59, v59, v4                                 // 0000000062C0: 6876093B
	v_add_u32_e32 v60, v60, v4                                 // 0000000062C4: 6878093C
	v_add_u32_e32 v61, v61, v4                                 // 0000000062C8: 687A093D
	v_add_u32_e32 v62, v62, v4                                 // 0000000062CC: 687C093E
	v_add_u32_e32 v63, v63, v4                                 // 0000000062D0: 687E093F
	v_add_u32_e32 v64, v64, v4                                 // 0000000062D4: 68800940
	v_add_u32_e32 v65, v65, v4                                 // 0000000062D8: 68820941
	v_add_u32_e32 v66, v66, v4                                 // 0000000062DC: 68840942
	v_add_u32_e32 v67, v67, v4                                 // 0000000062E0: 68860943
	v_add_u32_e32 v68, v68, v4                                 // 0000000062E4: 68880944
	v_add_u32_e32 v69, v69, v4                                 // 0000000062E8: 688A0945
	s_waitcnt lgkmcnt(0)                                       // 0000000062EC: BF8CC07F
	s_barrier                                                  // 0000000062F0: BF8A0000
	ds_read_b32 v72, v21                                       // 0000000062F4: D86C0000 48000015
	ds_read_b32 v73, v21 offset:64                             // 0000000062FC: D86C0040 49000015
	ds_read_b32 v74, v21 offset:2176                           // 000000006304: D86C0880 4A000015
	ds_read_b32 v75, v21 offset:2240                           // 00000000630C: D86C08C0 4B000015
	ds_read_b32 v76, v21 offset:4352                           // 000000006314: D86C1100 4C000015
	ds_read_b32 v77, v21 offset:4416                           // 00000000631C: D86C1140 4D000015
	ds_read_b32 v78, v21 offset:6528                           // 000000006324: D86C1980 4E000015
	ds_read_b32 v79, v21 offset:6592                           // 00000000632C: D86C19C0 4F000015
	ds_read_b32 v80, v21 offset:8704                           // 000000006334: D86C2200 50000015
	ds_read_b32 v81, v21 offset:8768                           // 00000000633C: D86C2240 51000015
	ds_read_b32 v82, v21 offset:10880                          // 000000006344: D86C2A80 52000015
	ds_read_b32 v83, v21 offset:10944                          // 00000000634C: D86C2AC0 53000015
	ds_read_b32 v84, v21 offset:13056                          // 000000006354: D86C3300 54000015
	ds_read_b32 v85, v21 offset:13120                          // 00000000635C: D86C3340 55000015
	ds_read_b32 v86, v21 offset:15232                          // 000000006364: D86C3B80 56000015
	ds_read_b32 v87, v21 offset:15296                          // 00000000636C: D86C3BC0 57000015
	ds_read_b32 v88, v21 offset:17408                          // 000000006374: D86C4400 58000015
	ds_read_b32 v89, v21 offset:17472                          // 00000000637C: D86C4440 59000015
	ds_read_b32 v90, v21 offset:19584                          // 000000006384: D86C4C80 5A000015
	ds_read_b32 v91, v21 offset:19648                          // 00000000638C: D86C4CC0 5B000015
	ds_read_b32 v92, v21 offset:21760                          // 000000006394: D86C5500 5C000015
	ds_read_b32 v93, v21 offset:21824                          // 00000000639C: D86C5540 5D000015
	ds_read_b32 v94, v21 offset:23936                          // 0000000063A4: D86C5D80 5E000015
	ds_read_b32 v95, v21 offset:24000                          // 0000000063AC: D86C5DC0 5F000015
	ds_read_b32 v96, v21 offset:26112                          // 0000000063B4: D86C6600 60000015
	ds_read_b32 v97, v21 offset:26176                          // 0000000063BC: D86C6640 61000015
	ds_read_b32 v98, v21 offset:28288                          // 0000000063C4: D86C6E80 62000015
	ds_read_b32 v99, v21 offset:28352                          // 0000000063CC: D86C6EC0 63000015
	s_waitcnt lgkmcnt(0)                                       // 0000000063D4: BF8CC07F
	s_mov_b32 s36, -1                                          // 0000000063D8: BEA400C1
	s_mov_b32 s37, -1                                          // 0000000063DC: BEA500C1
	v_mov_b32_e32 v7, 0                                        // 0000000063E0: 7E0E0280
	s_or_b32 s9, s9, 0x40000                                   // 0000000063E4: 8709FF09 00040000
	s_mov_b64 exec, s[36:37]                                   // 0000000063EC: BEFE0124
	v_mov_b32_e32 v6, v56                                      // 0000000063F0: 7E0C0338
	s_mov_b64 s[60:61], 0                                      // 0000000063F4: BEBC0180
	v_readlane_b32 s82, v3, 0                                  // 0000000063F8: D2890052 00010103
	s_and_b32 s82, s82, 0xffffff                               // 000000006400: 8652FF52 00FFFFFF
	s_cmp_lt_u32 s82, s66                                      // 000000006408: BF0A4252
	s_cselect_b32 s20, s36, s60                                // 00000000640C: 85143C24
	v_readlane_b32 s82, v3, 1                                  // 000000006410: D2890052 00010303
	s_and_b32 s82, s82, 0xffffff                               // 000000006418: 8652FF52 00FFFFFF
	s_cmp_lt_u32 s82, s66                                      // 000000006420: BF0A4252
	s_cselect_b32 s21, s36, s60                                // 000000006424: 85153C24
	s_mov_b64 exec, s[20:21]                                   // 000000006428: BEFE0114
	buffer_store_dword v72, v6, s[8:11], 0 offen               // 00000000642C: E0701000 80024806
	buffer_store_dword v74, v6, s[8:11], 0 offen offset:128    // 000000006434: E0701080 80024A06
	s_mov_b64 exec, s[36:37]                                   // 00000000643C: BEFE0124
	v_mov_b32_e32 v6, v57                                      // 000000006440: 7E0C0339
	s_mov_b64 s[60:61], 0                                      // 000000006444: BEBC0180
	v_readlane_b32 s82, v3, 2                                  // 000000006448: D2890052 00010503
	s_and_b32 s82, s82, 0xffffff                               // 000000006450: 8652FF52 00FFFFFF
	s_cmp_lt_u32 s82, s66                                      // 000000006458: BF0A4252
	s_cselect_b32 s20, s36, s60                                // 00000000645C: 85143C24
	v_readlane_b32 s82, v3, 3                                  // 000000006460: D2890052 00010703
	s_and_b32 s82, s82, 0xffffff                               // 000000006468: 8652FF52 00FFFFFF
	s_cmp_lt_u32 s82, s66                                      // 000000006470: BF0A4252
	s_cselect_b32 s21, s36, s60                                // 000000006474: 85153C24
	s_mov_b64 exec, s[20:21]                                   // 000000006478: BEFE0114
	buffer_store_dword v73, v6, s[8:11], 0 offen               // 00000000647C: E0701000 80024906
	buffer_store_dword v75, v6, s[8:11], 0 offen offset:128    // 000000006484: E0701080 80024B06
	s_mov_b64 exec, s[36:37]                                   // 00000000648C: BEFE0124
	v_mov_b32_e32 v6, v58                                      // 000000006490: 7E0C033A
	s_mov_b64 s[60:61], 0                                      // 000000006494: BEBC0180
	v_readlane_b32 s82, v3, 4                                  // 000000006498: D2890052 00010903
	s_and_b32 s82, s82, 0xffffff                               // 0000000064A0: 8652FF52 00FFFFFF
	s_cmp_lt_u32 s82, s66                                      // 0000000064A8: BF0A4252
	s_cselect_b32 s20, s36, s60                                // 0000000064AC: 85143C24
	v_readlane_b32 s82, v3, 5                                  // 0000000064B0: D2890052 00010B03
	s_and_b32 s82, s82, 0xffffff                               // 0000000064B8: 8652FF52 00FFFFFF
	s_cmp_lt_u32 s82, s66                                      // 0000000064C0: BF0A4252
	s_cselect_b32 s21, s36, s60                                // 0000000064C4: 85153C24
	s_mov_b64 exec, s[20:21]                                   // 0000000064C8: BEFE0114
	buffer_store_dword v76, v6, s[8:11], 0 offen               // 0000000064CC: E0701000 80024C06
	buffer_store_dword v78, v6, s[8:11], 0 offen offset:128    // 0000000064D4: E0701080 80024E06
	s_mov_b64 exec, s[36:37]                                   // 0000000064DC: BEFE0124
	v_mov_b32_e32 v6, v59                                      // 0000000064E0: 7E0C033B
	s_mov_b64 s[60:61], 0                                      // 0000000064E4: BEBC0180
	v_readlane_b32 s82, v3, 6                                  // 0000000064E8: D2890052 00010D03
	s_and_b32 s82, s82, 0xffffff                               // 0000000064F0: 8652FF52 00FFFFFF
	s_cmp_lt_u32 s82, s66                                      // 0000000064F8: BF0A4252
	s_cselect_b32 s20, s36, s60                                // 0000000064FC: 85143C24
	v_readlane_b32 s82, v3, 7                                  // 000000006500: D2890052 00010F03
	s_and_b32 s82, s82, 0xffffff                               // 000000006508: 8652FF52 00FFFFFF
	s_cmp_lt_u32 s82, s66                                      // 000000006510: BF0A4252
	s_cselect_b32 s21, s36, s60                                // 000000006514: 85153C24
	s_mov_b64 exec, s[20:21]                                   // 000000006518: BEFE0114
	buffer_store_dword v77, v6, s[8:11], 0 offen               // 00000000651C: E0701000 80024D06
	buffer_store_dword v79, v6, s[8:11], 0 offen offset:128    // 000000006524: E0701080 80024F06
	s_mov_b64 exec, s[36:37]                                   // 00000000652C: BEFE0124
	v_mov_b32_e32 v6, v60                                      // 000000006530: 7E0C033C
	s_mov_b64 s[60:61], 0                                      // 000000006534: BEBC0180
	v_readlane_b32 s82, v3, 8                                  // 000000006538: D2890052 00011103
	s_and_b32 s82, s82, 0xffffff                               // 000000006540: 8652FF52 00FFFFFF
	s_cmp_lt_u32 s82, s66                                      // 000000006548: BF0A4252
	s_cselect_b32 s20, s36, s60                                // 00000000654C: 85143C24
	v_readlane_b32 s82, v3, 9                                  // 000000006550: D2890052 00011303
	s_and_b32 s82, s82, 0xffffff                               // 000000006558: 8652FF52 00FFFFFF
	s_cmp_lt_u32 s82, s66                                      // 000000006560: BF0A4252
	s_cselect_b32 s21, s36, s60                                // 000000006564: 85153C24
	s_mov_b64 exec, s[20:21]                                   // 000000006568: BEFE0114
	buffer_store_dword v80, v6, s[8:11], 0 offen               // 00000000656C: E0701000 80025006
	buffer_store_dword v82, v6, s[8:11], 0 offen offset:128    // 000000006574: E0701080 80025206
	s_mov_b64 exec, s[36:37]                                   // 00000000657C: BEFE0124
	v_mov_b32_e32 v6, v61                                      // 000000006580: 7E0C033D
	s_mov_b64 s[60:61], 0                                      // 000000006584: BEBC0180
	v_readlane_b32 s82, v3, 10                                 // 000000006588: D2890052 00011503
	s_and_b32 s82, s82, 0xffffff                               // 000000006590: 8652FF52 00FFFFFF
	s_cmp_lt_u32 s82, s66                                      // 000000006598: BF0A4252
	s_cselect_b32 s20, s36, s60                                // 00000000659C: 85143C24
	v_readlane_b32 s82, v3, 11                                 // 0000000065A0: D2890052 00011703
	s_and_b32 s82, s82, 0xffffff                               // 0000000065A8: 8652FF52 00FFFFFF
	s_cmp_lt_u32 s82, s66                                      // 0000000065B0: BF0A4252
	s_cselect_b32 s21, s36, s60                                // 0000000065B4: 85153C24
	s_mov_b64 exec, s[20:21]                                   // 0000000065B8: BEFE0114
	buffer_store_dword v81, v6, s[8:11], 0 offen               // 0000000065BC: E0701000 80025106
	buffer_store_dword v83, v6, s[8:11], 0 offen offset:128    // 0000000065C4: E0701080 80025306
	s_mov_b64 exec, s[36:37]                                   // 0000000065CC: BEFE0124
	v_mov_b32_e32 v6, v62                                      // 0000000065D0: 7E0C033E
	s_mov_b64 s[60:61], 0                                      // 0000000065D4: BEBC0180
	v_readlane_b32 s82, v3, 12                                 // 0000000065D8: D2890052 00011903
	s_and_b32 s82, s82, 0xffffff                               // 0000000065E0: 8652FF52 00FFFFFF
	s_cmp_lt_u32 s82, s66                                      // 0000000065E8: BF0A4252
	s_cselect_b32 s20, s36, s60                                // 0000000065EC: 85143C24
	v_readlane_b32 s82, v3, 13                                 // 0000000065F0: D2890052 00011B03
	s_and_b32 s82, s82, 0xffffff                               // 0000000065F8: 8652FF52 00FFFFFF
	s_cmp_lt_u32 s82, s66                                      // 000000006600: BF0A4252
	s_cselect_b32 s21, s36, s60                                // 000000006604: 85153C24
	s_mov_b64 exec, s[20:21]                                   // 000000006608: BEFE0114
	buffer_store_dword v84, v6, s[8:11], 0 offen               // 00000000660C: E0701000 80025406
	buffer_store_dword v86, v6, s[8:11], 0 offen offset:128    // 000000006614: E0701080 80025606
	s_mov_b64 exec, s[36:37]                                   // 00000000661C: BEFE0124
	v_mov_b32_e32 v6, v63                                      // 000000006620: 7E0C033F
	s_mov_b64 s[60:61], 0                                      // 000000006624: BEBC0180
	v_readlane_b32 s82, v3, 14                                 // 000000006628: D2890052 00011D03
	s_and_b32 s82, s82, 0xffffff                               // 000000006630: 8652FF52 00FFFFFF
	s_cmp_lt_u32 s82, s66                                      // 000000006638: BF0A4252
	s_cselect_b32 s20, s36, s60                                // 00000000663C: 85143C24
	v_readlane_b32 s82, v3, 15                                 // 000000006640: D2890052 00011F03
	s_and_b32 s82, s82, 0xffffff                               // 000000006648: 8652FF52 00FFFFFF
	s_cmp_lt_u32 s82, s66                                      // 000000006650: BF0A4252
	s_cselect_b32 s21, s36, s60                                // 000000006654: 85153C24
	s_mov_b64 exec, s[20:21]                                   // 000000006658: BEFE0114
	buffer_store_dword v85, v6, s[8:11], 0 offen               // 00000000665C: E0701000 80025506
	buffer_store_dword v87, v6, s[8:11], 0 offen offset:128    // 000000006664: E0701080 80025706
	s_mov_b64 exec, s[36:37]                                   // 00000000666C: BEFE0124
	v_mov_b32_e32 v6, v64                                      // 000000006670: 7E0C0340
	s_mov_b64 s[60:61], 0                                      // 000000006674: BEBC0180
	v_readlane_b32 s82, v3, 16                                 // 000000006678: D2890052 00012103
	s_and_b32 s82, s82, 0xffffff                               // 000000006680: 8652FF52 00FFFFFF
	s_cmp_lt_u32 s82, s66                                      // 000000006688: BF0A4252
	s_cselect_b32 s20, s36, s60                                // 00000000668C: 85143C24
	v_readlane_b32 s82, v3, 17                                 // 000000006690: D2890052 00012303
	s_and_b32 s82, s82, 0xffffff                               // 000000006698: 8652FF52 00FFFFFF
	s_cmp_lt_u32 s82, s66                                      // 0000000066A0: BF0A4252
	s_cselect_b32 s21, s36, s60                                // 0000000066A4: 85153C24
	s_mov_b64 exec, s[20:21]                                   // 0000000066A8: BEFE0114
	buffer_store_dword v88, v6, s[8:11], 0 offen               // 0000000066AC: E0701000 80025806
	buffer_store_dword v90, v6, s[8:11], 0 offen offset:128    // 0000000066B4: E0701080 80025A06
	s_mov_b64 exec, s[36:37]                                   // 0000000066BC: BEFE0124
	v_mov_b32_e32 v6, v65                                      // 0000000066C0: 7E0C0341
	s_mov_b64 s[60:61], 0                                      // 0000000066C4: BEBC0180
	v_readlane_b32 s82, v3, 18                                 // 0000000066C8: D2890052 00012503
	s_and_b32 s82, s82, 0xffffff                               // 0000000066D0: 8652FF52 00FFFFFF
	s_cmp_lt_u32 s82, s66                                      // 0000000066D8: BF0A4252
	s_cselect_b32 s20, s36, s60                                // 0000000066DC: 85143C24
	v_readlane_b32 s82, v3, 19                                 // 0000000066E0: D2890052 00012703
	s_and_b32 s82, s82, 0xffffff                               // 0000000066E8: 8652FF52 00FFFFFF
	s_cmp_lt_u32 s82, s66                                      // 0000000066F0: BF0A4252
	s_cselect_b32 s21, s36, s60                                // 0000000066F4: 85153C24
	s_mov_b64 exec, s[20:21]                                   // 0000000066F8: BEFE0114
	buffer_store_dword v89, v6, s[8:11], 0 offen               // 0000000066FC: E0701000 80025906
	buffer_store_dword v91, v6, s[8:11], 0 offen offset:128    // 000000006704: E0701080 80025B06
	s_mov_b64 exec, s[36:37]                                   // 00000000670C: BEFE0124
	v_mov_b32_e32 v6, v66                                      // 000000006710: 7E0C0342
	s_mov_b64 s[60:61], 0                                      // 000000006714: BEBC0180
	v_readlane_b32 s82, v3, 20                                 // 000000006718: D2890052 00012903
	s_and_b32 s82, s82, 0xffffff                               // 000000006720: 8652FF52 00FFFFFF
	s_cmp_lt_u32 s82, s66                                      // 000000006728: BF0A4252
	s_cselect_b32 s20, s36, s60                                // 00000000672C: 85143C24
	v_readlane_b32 s82, v3, 21                                 // 000000006730: D2890052 00012B03
	s_and_b32 s82, s82, 0xffffff                               // 000000006738: 8652FF52 00FFFFFF
	s_cmp_lt_u32 s82, s66                                      // 000000006740: BF0A4252
	s_cselect_b32 s21, s36, s60                                // 000000006744: 85153C24
	s_mov_b64 exec, s[20:21]                                   // 000000006748: BEFE0114
	buffer_store_dword v92, v6, s[8:11], 0 offen               // 00000000674C: E0701000 80025C06
	buffer_store_dword v94, v6, s[8:11], 0 offen offset:128    // 000000006754: E0701080 80025E06
	s_mov_b64 exec, s[36:37]                                   // 00000000675C: BEFE0124
	v_mov_b32_e32 v6, v67                                      // 000000006760: 7E0C0343
	s_mov_b64 s[60:61], 0                                      // 000000006764: BEBC0180
	v_readlane_b32 s82, v3, 22                                 // 000000006768: D2890052 00012D03
	s_and_b32 s82, s82, 0xffffff                               // 000000006770: 8652FF52 00FFFFFF
	s_cmp_lt_u32 s82, s66                                      // 000000006778: BF0A4252
	s_cselect_b32 s20, s36, s60                                // 00000000677C: 85143C24
	v_readlane_b32 s82, v3, 23                                 // 000000006780: D2890052 00012F03
	s_and_b32 s82, s82, 0xffffff                               // 000000006788: 8652FF52 00FFFFFF
	s_cmp_lt_u32 s82, s66                                      // 000000006790: BF0A4252
	s_cselect_b32 s21, s36, s60                                // 000000006794: 85153C24
	s_mov_b64 exec, s[20:21]                                   // 000000006798: BEFE0114
	buffer_store_dword v93, v6, s[8:11], 0 offen               // 00000000679C: E0701000 80025D06
	buffer_store_dword v95, v6, s[8:11], 0 offen offset:128    // 0000000067A4: E0701080 80025F06
	s_mov_b64 exec, s[36:37]                                   // 0000000067AC: BEFE0124
	v_mov_b32_e32 v6, v68                                      // 0000000067B0: 7E0C0344
	s_mov_b64 s[60:61], 0                                      // 0000000067B4: BEBC0180
	v_readlane_b32 s82, v3, 24                                 // 0000000067B8: D2890052 00013103
	s_and_b32 s82, s82, 0xffffff                               // 0000000067C0: 8652FF52 00FFFFFF
	s_cmp_lt_u32 s82, s66                                      // 0000000067C8: BF0A4252
	s_cselect_b32 s20, s36, s60                                // 0000000067CC: 85143C24
	v_readlane_b32 s82, v3, 25                                 // 0000000067D0: D2890052 00013303
	s_and_b32 s82, s82, 0xffffff                               // 0000000067D8: 8652FF52 00FFFFFF
	s_cmp_lt_u32 s82, s66                                      // 0000000067E0: BF0A4252
	s_cselect_b32 s21, s36, s60                                // 0000000067E4: 85153C24
	s_mov_b64 exec, s[20:21]                                   // 0000000067E8: BEFE0114
	buffer_store_dword v96, v6, s[8:11], 0 offen               // 0000000067EC: E0701000 80026006
	buffer_store_dword v98, v6, s[8:11], 0 offen offset:128    // 0000000067F4: E0701080 80026206
	s_mov_b64 exec, s[36:37]                                   // 0000000067FC: BEFE0124
	v_mov_b32_e32 v6, v69                                      // 000000006800: 7E0C0345
	s_mov_b64 s[60:61], 0                                      // 000000006804: BEBC0180
	v_readlane_b32 s82, v3, 26                                 // 000000006808: D2890052 00013503
	s_and_b32 s82, s82, 0xffffff                               // 000000006810: 8652FF52 00FFFFFF
	s_cmp_lt_u32 s82, s66                                      // 000000006818: BF0A4252
	s_cselect_b32 s20, s36, s60                                // 00000000681C: 85143C24
	v_readlane_b32 s82, v3, 27                                 // 000000006820: D2890052 00013703
	s_and_b32 s82, s82, 0xffffff                               // 000000006828: 8652FF52 00FFFFFF
	s_cmp_lt_u32 s82, s66                                      // 000000006830: BF0A4252
	s_cselect_b32 s21, s36, s60                                // 000000006834: 85153C24
	s_mov_b64 exec, s[20:21]                                   // 000000006838: BEFE0114
	buffer_store_dword v97, v6, s[8:11], 0 offen               // 00000000683C: E0701000 80026106
	buffer_store_dword v99, v6, s[8:11], 0 offen offset:128    // 000000006844: E0701080 80026306
	s_mov_b64 exec, s[36:37]                                   // 00000000684C: BEFE0124
	s_branch label_2A06                                        // 000000006850: BF821A6E

0000000000006854 <label_0F95>:
	ds_write_b64 v20, v[72:73]                                 // 000000006854: D89A0000 00004814
	ds_write_b64 v20, v[76:77] offset:4352                     // 00000000685C: D89A1100 00004C14
	ds_write_b64 v20, v[80:81] offset:8704                     // 000000006864: D89A2200 00005014
	ds_write_b64 v20, v[84:85] offset:13056                    // 00000000686C: D89A3300 00005414
	ds_write_b64 v20, v[88:89] offset:17408                    // 000000006874: D89A4400 00005814
	ds_write_b64 v20, v[92:93] offset:21760                    // 00000000687C: D89A5500 00005C14
	ds_write_b64 v20, v[96:97] offset:26112                    // 000000006884: D89A6600 00006014
	ds_write_b64 v20, v[100:101] offset:2176                   // 00000000688C: D89A0880 00006414
	ds_write_b64 v20, v[104:105] offset:6528                   // 000000006894: D89A1980 00006814
	ds_write_b64 v20, v[108:109] offset:10880                  // 00000000689C: D89A2A80 00006C14
	ds_write_b64 v20, v[112:113] offset:15232                  // 0000000068A4: D89A3B80 00007014
	ds_write_b64 v20, v[116:117] offset:19584                  // 0000000068AC: D89A4C80 00007414
	ds_write_b64 v20, v[120:121] offset:23936                  // 0000000068B4: D89A5D80 00007814
	ds_write_b64 v20, v[124:125] offset:28288                  // 0000000068BC: D89A6E80 00007C14
	v_lshrrev_b32_e32 v4, 5, v0                                // 0000000068C4: 20080085
	v_xor_b32_e32 v5, 1, v4                                    // 0000000068C8: 2A0A0881
	s_mul_i32 s60, s65, 2                                      // 0000000068CC: 923C8241
	s_cmp_eq_u32 s88, 0                                        // 0000000068D0: BF068058
	s_cselect_b32 s61, 1, 4                                    // 0000000068D4: 853D8481
	s_mul_i32 s60, s61, s60                                    // 0000000068D8: 923C3C3D
	v_readlane_b32 s82, v3, 0                                  // 0000000068DC: D2890052 00010103
	s_lshr_b32 s61, s82, 24                                    // 0000000068E4: 8F3D9852
	s_and_b32 s82, s82, 0xffffff                               // 0000000068E8: 8652FF52 00FFFFFF
	s_mul_i32 s82, s82, s71                                    // 0000000068F0: 92524752
	s_mul_i32 s61, s60, s61                                    // 0000000068F4: 923D3D3C
	s_add_u32 s82, s82, s61                                    // 0000000068F8: 80523D52
	v_mul_lo_u32 v6, v5, s82                                   // 0000000068FC: D2850006 0000A505
	v_readlane_b32 s82, v3, 1                                  // 000000006904: D2890052 00010303
	s_lshr_b32 s61, s82, 24                                    // 00000000690C: 8F3D9852
	s_and_b32 s82, s82, 0xffffff                               // 000000006910: 8652FF52 00FFFFFF
	s_mul_i32 s82, s82, s71                                    // 000000006918: 92524752
	s_mul_i32 s61, s60, s61                                    // 00000000691C: 923D3D3C
	s_add_u32 s82, s82, s61                                    // 000000006920: 80523D52
	v_mul_lo_u32 v7, v4, s82                                   // 000000006924: D2850007 0000A504
	v_add_u32_e32 v56, v6, v7                                  // 00000000692C: 68700F06
	v_readlane_b32 s82, v3, 2                                  // 000000006930: D2890052 00010503
	s_lshr_b32 s61, s82, 24                                    // 000000006938: 8F3D9852
	s_and_b32 s82, s82, 0xffffff                               // 00000000693C: 8652FF52 00FFFFFF
	s_mul_i32 s82, s82, s71                                    // 000000006944: 92524752
	s_mul_i32 s61, s60, s61                                    // 000000006948: 923D3D3C
	s_add_u32 s82, s82, s61                                    // 00000000694C: 80523D52
	v_mul_lo_u32 v6, v5, s82                                   // 000000006950: D2850006 0000A505
	v_readlane_b32 s82, v3, 3                                  // 000000006958: D2890052 00010703
	s_lshr_b32 s61, s82, 24                                    // 000000006960: 8F3D9852
	s_and_b32 s82, s82, 0xffffff                               // 000000006964: 8652FF52 00FFFFFF
	s_mul_i32 s82, s82, s71                                    // 00000000696C: 92524752
	s_mul_i32 s61, s60, s61                                    // 000000006970: 923D3D3C
	s_add_u32 s82, s82, s61                                    // 000000006974: 80523D52
	v_mul_lo_u32 v7, v4, s82                                   // 000000006978: D2850007 0000A504
	v_add_u32_e32 v57, v6, v7                                  // 000000006980: 68720F06
	v_readlane_b32 s82, v3, 4                                  // 000000006984: D2890052 00010903
	s_lshr_b32 s61, s82, 24                                    // 00000000698C: 8F3D9852
	s_and_b32 s82, s82, 0xffffff                               // 000000006990: 8652FF52 00FFFFFF
	s_mul_i32 s82, s82, s71                                    // 000000006998: 92524752
	s_mul_i32 s61, s60, s61                                    // 00000000699C: 923D3D3C
	s_add_u32 s82, s82, s61                                    // 0000000069A0: 80523D52
	v_mul_lo_u32 v6, v5, s82                                   // 0000000069A4: D2850006 0000A505
	v_readlane_b32 s82, v3, 5                                  // 0000000069AC: D2890052 00010B03
	s_lshr_b32 s61, s82, 24                                    // 0000000069B4: 8F3D9852
	s_and_b32 s82, s82, 0xffffff                               // 0000000069B8: 8652FF52 00FFFFFF
	s_mul_i32 s82, s82, s71                                    // 0000000069C0: 92524752
	s_mul_i32 s61, s60, s61                                    // 0000000069C4: 923D3D3C
	s_add_u32 s82, s82, s61                                    // 0000000069C8: 80523D52
	v_mul_lo_u32 v7, v4, s82                                   // 0000000069CC: D2850007 0000A504
	v_add_u32_e32 v58, v6, v7                                  // 0000000069D4: 68740F06
	v_readlane_b32 s82, v3, 6                                  // 0000000069D8: D2890052 00010D03
	s_lshr_b32 s61, s82, 24                                    // 0000000069E0: 8F3D9852
	s_and_b32 s82, s82, 0xffffff                               // 0000000069E4: 8652FF52 00FFFFFF
	s_mul_i32 s82, s82, s71                                    // 0000000069EC: 92524752
	s_mul_i32 s61, s60, s61                                    // 0000000069F0: 923D3D3C
	s_add_u32 s82, s82, s61                                    // 0000000069F4: 80523D52
	v_mul_lo_u32 v6, v5, s82                                   // 0000000069F8: D2850006 0000A505
	v_readlane_b32 s82, v3, 7                                  // 000000006A00: D2890052 00010F03
	s_lshr_b32 s61, s82, 24                                    // 000000006A08: 8F3D9852
	s_and_b32 s82, s82, 0xffffff                               // 000000006A0C: 8652FF52 00FFFFFF
	s_mul_i32 s82, s82, s71                                    // 000000006A14: 92524752
	s_mul_i32 s61, s60, s61                                    // 000000006A18: 923D3D3C
	s_add_u32 s82, s82, s61                                    // 000000006A1C: 80523D52
	v_mul_lo_u32 v7, v4, s82                                   // 000000006A20: D2850007 0000A504
	v_add_u32_e32 v59, v6, v7                                  // 000000006A28: 68760F06
	v_readlane_b32 s82, v3, 8                                  // 000000006A2C: D2890052 00011103
	s_lshr_b32 s61, s82, 24                                    // 000000006A34: 8F3D9852
	s_and_b32 s82, s82, 0xffffff                               // 000000006A38: 8652FF52 00FFFFFF
	s_mul_i32 s82, s82, s71                                    // 000000006A40: 92524752
	s_mul_i32 s61, s60, s61                                    // 000000006A44: 923D3D3C
	s_add_u32 s82, s82, s61                                    // 000000006A48: 80523D52
	v_mul_lo_u32 v6, v5, s82                                   // 000000006A4C: D2850006 0000A505
	v_readlane_b32 s82, v3, 9                                  // 000000006A54: D2890052 00011303
	s_lshr_b32 s61, s82, 24                                    // 000000006A5C: 8F3D9852
	s_and_b32 s82, s82, 0xffffff                               // 000000006A60: 8652FF52 00FFFFFF
	s_mul_i32 s82, s82, s71                                    // 000000006A68: 92524752
	s_mul_i32 s61, s60, s61                                    // 000000006A6C: 923D3D3C
	s_add_u32 s82, s82, s61                                    // 000000006A70: 80523D52
	v_mul_lo_u32 v7, v4, s82                                   // 000000006A74: D2850007 0000A504
	v_add_u32_e32 v60, v6, v7                                  // 000000006A7C: 68780F06
	v_readlane_b32 s82, v3, 10                                 // 000000006A80: D2890052 00011503
	s_lshr_b32 s61, s82, 24                                    // 000000006A88: 8F3D9852
	s_and_b32 s82, s82, 0xffffff                               // 000000006A8C: 8652FF52 00FFFFFF
	s_mul_i32 s82, s82, s71                                    // 000000006A94: 92524752
	s_mul_i32 s61, s60, s61                                    // 000000006A98: 923D3D3C
	s_add_u32 s82, s82, s61                                    // 000000006A9C: 80523D52
	v_mul_lo_u32 v6, v5, s82                                   // 000000006AA0: D2850006 0000A505
	v_readlane_b32 s82, v3, 11                                 // 000000006AA8: D2890052 00011703
	s_lshr_b32 s61, s82, 24                                    // 000000006AB0: 8F3D9852
	s_and_b32 s82, s82, 0xffffff                               // 000000006AB4: 8652FF52 00FFFFFF
	s_mul_i32 s82, s82, s71                                    // 000000006ABC: 92524752
	s_mul_i32 s61, s60, s61                                    // 000000006AC0: 923D3D3C
	s_add_u32 s82, s82, s61                                    // 000000006AC4: 80523D52
	v_mul_lo_u32 v7, v4, s82                                   // 000000006AC8: D2850007 0000A504
	v_add_u32_e32 v61, v6, v7                                  // 000000006AD0: 687A0F06
	v_readlane_b32 s82, v3, 12                                 // 000000006AD4: D2890052 00011903
	s_lshr_b32 s61, s82, 24                                    // 000000006ADC: 8F3D9852
	s_and_b32 s82, s82, 0xffffff                               // 000000006AE0: 8652FF52 00FFFFFF
	s_mul_i32 s82, s82, s71                                    // 000000006AE8: 92524752
	s_mul_i32 s61, s60, s61                                    // 000000006AEC: 923D3D3C
	s_add_u32 s82, s82, s61                                    // 000000006AF0: 80523D52
	v_mul_lo_u32 v6, v5, s82                                   // 000000006AF4: D2850006 0000A505
	v_readlane_b32 s82, v3, 13                                 // 000000006AFC: D2890052 00011B03
	s_lshr_b32 s61, s82, 24                                    // 000000006B04: 8F3D9852
	s_and_b32 s82, s82, 0xffffff                               // 000000006B08: 8652FF52 00FFFFFF
	s_mul_i32 s82, s82, s71                                    // 000000006B10: 92524752
	s_mul_i32 s61, s60, s61                                    // 000000006B14: 923D3D3C
	s_add_u32 s82, s82, s61                                    // 000000006B18: 80523D52
	v_mul_lo_u32 v7, v4, s82                                   // 000000006B1C: D2850007 0000A504
	v_add_u32_e32 v62, v6, v7                                  // 000000006B24: 687C0F06
	v_readlane_b32 s82, v3, 14                                 // 000000006B28: D2890052 00011D03
	s_lshr_b32 s61, s82, 24                                    // 000000006B30: 8F3D9852
	s_and_b32 s82, s82, 0xffffff                               // 000000006B34: 8652FF52 00FFFFFF
	s_mul_i32 s82, s82, s71                                    // 000000006B3C: 92524752
	s_mul_i32 s61, s60, s61                                    // 000000006B40: 923D3D3C
	s_add_u32 s82, s82, s61                                    // 000000006B44: 80523D52
	v_mul_lo_u32 v6, v5, s82                                   // 000000006B48: D2850006 0000A505
	v_readlane_b32 s82, v3, 15                                 // 000000006B50: D2890052 00011F03
	s_lshr_b32 s61, s82, 24                                    // 000000006B58: 8F3D9852
	s_and_b32 s82, s82, 0xffffff                               // 000000006B5C: 8652FF52 00FFFFFF
	s_mul_i32 s82, s82, s71                                    // 000000006B64: 92524752
	s_mul_i32 s61, s60, s61                                    // 000000006B68: 923D3D3C
	s_add_u32 s82, s82, s61                                    // 000000006B6C: 80523D52
	v_mul_lo_u32 v7, v4, s82                                   // 000000006B70: D2850007 0000A504
	v_add_u32_e32 v63, v6, v7                                  // 000000006B78: 687E0F06
	v_readlane_b32 s82, v3, 16                                 // 000000006B7C: D2890052 00012103
	s_lshr_b32 s61, s82, 24                                    // 000000006B84: 8F3D9852
	s_and_b32 s82, s82, 0xffffff                               // 000000006B88: 8652FF52 00FFFFFF
	s_mul_i32 s82, s82, s71                                    // 000000006B90: 92524752
	s_mul_i32 s61, s60, s61                                    // 000000006B94: 923D3D3C
	s_add_u32 s82, s82, s61                                    // 000000006B98: 80523D52
	v_mul_lo_u32 v6, v5, s82                                   // 000000006B9C: D2850006 0000A505
	v_readlane_b32 s82, v3, 17                                 // 000000006BA4: D2890052 00012303
	s_lshr_b32 s61, s82, 24                                    // 000000006BAC: 8F3D9852
	s_and_b32 s82, s82, 0xffffff                               // 000000006BB0: 8652FF52 00FFFFFF
	s_mul_i32 s82, s82, s71                                    // 000000006BB8: 92524752
	s_mul_i32 s61, s60, s61                                    // 000000006BBC: 923D3D3C
	s_add_u32 s82, s82, s61                                    // 000000006BC0: 80523D52
	v_mul_lo_u32 v7, v4, s82                                   // 000000006BC4: D2850007 0000A504
	v_add_u32_e32 v64, v6, v7                                  // 000000006BCC: 68800F06
	v_readlane_b32 s82, v3, 18                                 // 000000006BD0: D2890052 00012503
	s_lshr_b32 s61, s82, 24                                    // 000000006BD8: 8F3D9852
	s_and_b32 s82, s82, 0xffffff                               // 000000006BDC: 8652FF52 00FFFFFF
	s_mul_i32 s82, s82, s71                                    // 000000006BE4: 92524752
	s_mul_i32 s61, s60, s61                                    // 000000006BE8: 923D3D3C
	s_add_u32 s82, s82, s61                                    // 000000006BEC: 80523D52
	v_mul_lo_u32 v6, v5, s82                                   // 000000006BF0: D2850006 0000A505
	v_readlane_b32 s82, v3, 19                                 // 000000006BF8: D2890052 00012703
	s_lshr_b32 s61, s82, 24                                    // 000000006C00: 8F3D9852
	s_and_b32 s82, s82, 0xffffff                               // 000000006C04: 8652FF52 00FFFFFF
	s_mul_i32 s82, s82, s71                                    // 000000006C0C: 92524752
	s_mul_i32 s61, s60, s61                                    // 000000006C10: 923D3D3C
	s_add_u32 s82, s82, s61                                    // 000000006C14: 80523D52
	v_mul_lo_u32 v7, v4, s82                                   // 000000006C18: D2850007 0000A504
	v_add_u32_e32 v65, v6, v7                                  // 000000006C20: 68820F06
	v_readlane_b32 s82, v3, 20                                 // 000000006C24: D2890052 00012903
	s_lshr_b32 s61, s82, 24                                    // 000000006C2C: 8F3D9852
	s_and_b32 s82, s82, 0xffffff                               // 000000006C30: 8652FF52 00FFFFFF
	s_mul_i32 s82, s82, s71                                    // 000000006C38: 92524752
	s_mul_i32 s61, s60, s61                                    // 000000006C3C: 923D3D3C
	s_add_u32 s82, s82, s61                                    // 000000006C40: 80523D52
	v_mul_lo_u32 v6, v5, s82                                   // 000000006C44: D2850006 0000A505
	v_readlane_b32 s82, v3, 21                                 // 000000006C4C: D2890052 00012B03
	s_lshr_b32 s61, s82, 24                                    // 000000006C54: 8F3D9852
	s_and_b32 s82, s82, 0xffffff                               // 000000006C58: 8652FF52 00FFFFFF
	s_mul_i32 s82, s82, s71                                    // 000000006C60: 92524752
	s_mul_i32 s61, s60, s61                                    // 000000006C64: 923D3D3C
	s_add_u32 s82, s82, s61                                    // 000000006C68: 80523D52
	v_mul_lo_u32 v7, v4, s82                                   // 000000006C6C: D2850007 0000A504
	v_add_u32_e32 v66, v6, v7                                  // 000000006C74: 68840F06
	v_readlane_b32 s82, v3, 22                                 // 000000006C78: D2890052 00012D03
	s_lshr_b32 s61, s82, 24                                    // 000000006C80: 8F3D9852
	s_and_b32 s82, s82, 0xffffff                               // 000000006C84: 8652FF52 00FFFFFF
	s_mul_i32 s82, s82, s71                                    // 000000006C8C: 92524752
	s_mul_i32 s61, s60, s61                                    // 000000006C90: 923D3D3C
	s_add_u32 s82, s82, s61                                    // 000000006C94: 80523D52
	v_mul_lo_u32 v6, v5, s82                                   // 000000006C98: D2850006 0000A505
	v_readlane_b32 s82, v3, 23                                 // 000000006CA0: D2890052 00012F03
	s_lshr_b32 s61, s82, 24                                    // 000000006CA8: 8F3D9852
	s_and_b32 s82, s82, 0xffffff                               // 000000006CAC: 8652FF52 00FFFFFF
	s_mul_i32 s82, s82, s71                                    // 000000006CB4: 92524752
	s_mul_i32 s61, s60, s61                                    // 000000006CB8: 923D3D3C
	s_add_u32 s82, s82, s61                                    // 000000006CBC: 80523D52
	v_mul_lo_u32 v7, v4, s82                                   // 000000006CC0: D2850007 0000A504
	v_add_u32_e32 v67, v6, v7                                  // 000000006CC8: 68860F06
	v_readlane_b32 s82, v3, 24                                 // 000000006CCC: D2890052 00013103
	s_lshr_b32 s61, s82, 24                                    // 000000006CD4: 8F3D9852
	s_and_b32 s82, s82, 0xffffff                               // 000000006CD8: 8652FF52 00FFFFFF
	s_mul_i32 s82, s82, s71                                    // 000000006CE0: 92524752
	s_mul_i32 s61, s60, s61                                    // 000000006CE4: 923D3D3C
	s_add_u32 s82, s82, s61                                    // 000000006CE8: 80523D52
	v_mul_lo_u32 v6, v5, s82                                   // 000000006CEC: D2850006 0000A505
	v_readlane_b32 s82, v3, 25                                 // 000000006CF4: D2890052 00013303
	s_lshr_b32 s61, s82, 24                                    // 000000006CFC: 8F3D9852
	s_and_b32 s82, s82, 0xffffff                               // 000000006D00: 8652FF52 00FFFFFF
	s_mul_i32 s82, s82, s71                                    // 000000006D08: 92524752
	s_mul_i32 s61, s60, s61                                    // 000000006D0C: 923D3D3C
	s_add_u32 s82, s82, s61                                    // 000000006D10: 80523D52
	v_mul_lo_u32 v7, v4, s82                                   // 000000006D14: D2850007 0000A504
	v_add_u32_e32 v68, v6, v7                                  // 000000006D1C: 68880F06
	v_readlane_b32 s82, v3, 26                                 // 000000006D20: D2890052 00013503
	s_lshr_b32 s61, s82, 24                                    // 000000006D28: 8F3D9852
	s_and_b32 s82, s82, 0xffffff                               // 000000006D2C: 8652FF52 00FFFFFF
	s_mul_i32 s82, s82, s71                                    // 000000006D34: 92524752
	s_mul_i32 s61, s60, s61                                    // 000000006D38: 923D3D3C
	s_add_u32 s82, s82, s61                                    // 000000006D3C: 80523D52
	v_mul_lo_u32 v6, v5, s82                                   // 000000006D40: D2850006 0000A505
	v_readlane_b32 s82, v3, 27                                 // 000000006D48: D2890052 00013703
	s_lshr_b32 s61, s82, 24                                    // 000000006D50: 8F3D9852
	s_and_b32 s82, s82, 0xffffff                               // 000000006D54: 8652FF52 00FFFFFF
	s_mul_i32 s82, s82, s71                                    // 000000006D5C: 92524752
	s_mul_i32 s61, s60, s61                                    // 000000006D60: 923D3D3C
	s_add_u32 s82, s82, s61                                    // 000000006D64: 80523D52
	v_mul_lo_u32 v7, v4, s82                                   // 000000006D68: D2850007 0000A504
	v_add_u32_e32 v69, v6, v7                                  // 000000006D70: 688A0F06
	v_and_b32_e32 v4, 31, v0                                   // 000000006D74: 2608009F
	v_lshrrev_b32_e32 v4, 1, v4                                // 000000006D78: 20080881
	s_cmp_eq_u32 s88, 0                                        // 000000006D7C: BF068058
	s_cselect_b32 s61, 2, 4                                    // 000000006D80: 853D8482
	v_mul_lo_u32 v4, v4, s61                                   // 000000006D84: D2850004 00007B04
	v_and_b32_e64 v5, v0, 1                                    // 000000006D8C: D1130005 00010300
	v_add_u32_e32 v4, v4, v5                                   // 000000006D94: 68080B04
	v_lshlrev_b32_e32 v4, 2, v4                                // 000000006D98: 24080882
	v_add_u32_e32 v56, v56, v4                                 // 000000006D9C: 68700938
	v_add_u32_e32 v57, v57, v4                                 // 000000006DA0: 68720939
	v_add_u32_e32 v58, v58, v4                                 // 000000006DA4: 6874093A
	v_add_u32_e32 v59, v59, v4                                 // 000000006DA8: 6876093B
	v_add_u32_e32 v60, v60, v4                                 // 000000006DAC: 6878093C
	v_add_u32_e32 v61, v61, v4                                 // 000000006DB0: 687A093D
	v_add_u32_e32 v62, v62, v4                                 // 000000006DB4: 687C093E
	v_add_u32_e32 v63, v63, v4                                 // 000000006DB8: 687E093F
	v_add_u32_e32 v64, v64, v4                                 // 000000006DBC: 68800940
	v_add_u32_e32 v65, v65, v4                                 // 000000006DC0: 68820941
	v_add_u32_e32 v66, v66, v4                                 // 000000006DC4: 68840942
	v_add_u32_e32 v67, v67, v4                                 // 000000006DC8: 68860943
	v_add_u32_e32 v68, v68, v4                                 // 000000006DCC: 68880944
	v_add_u32_e32 v69, v69, v4                                 // 000000006DD0: 688A0945
	s_waitcnt lgkmcnt(0)                                       // 000000006DD4: BF8CC07F
	s_barrier                                                  // 000000006DD8: BF8A0000
	ds_read_b32 v72, v21                                       // 000000006DDC: D86C0000 48000015
	ds_read_b32 v73, v21 offset:64                             // 000000006DE4: D86C0040 49000015
	ds_read_b32 v76, v21 offset:2176                           // 000000006DEC: D86C0880 4C000015
	ds_read_b32 v77, v21 offset:2240                           // 000000006DF4: D86C08C0 4D000015
	ds_read_b32 v80, v21 offset:4352                           // 000000006DFC: D86C1100 50000015
	ds_read_b32 v81, v21 offset:4416                           // 000000006E04: D86C1140 51000015
	ds_read_b32 v84, v21 offset:6528                           // 000000006E0C: D86C1980 54000015
	ds_read_b32 v85, v21 offset:6592                           // 000000006E14: D86C19C0 55000015
	ds_read_b32 v88, v21 offset:8704                           // 000000006E1C: D86C2200 58000015
	ds_read_b32 v89, v21 offset:8768                           // 000000006E24: D86C2240 59000015
	ds_read_b32 v92, v21 offset:10880                          // 000000006E2C: D86C2A80 5C000015
	ds_read_b32 v93, v21 offset:10944                          // 000000006E34: D86C2AC0 5D000015
	ds_read_b32 v96, v21 offset:13056                          // 000000006E3C: D86C3300 60000015
	ds_read_b32 v97, v21 offset:13120                          // 000000006E44: D86C3340 61000015
	ds_read_b32 v100, v21 offset:15232                         // 000000006E4C: D86C3B80 64000015
	ds_read_b32 v101, v21 offset:15296                         // 000000006E54: D86C3BC0 65000015
	ds_read_b32 v104, v21 offset:17408                         // 000000006E5C: D86C4400 68000015
	ds_read_b32 v105, v21 offset:17472                         // 000000006E64: D86C4440 69000015
	ds_read_b32 v108, v21 offset:19584                         // 000000006E6C: D86C4C80 6C000015
	ds_read_b32 v109, v21 offset:19648                         // 000000006E74: D86C4CC0 6D000015
	ds_read_b32 v112, v21 offset:21760                         // 000000006E7C: D86C5500 70000015
	ds_read_b32 v113, v21 offset:21824                         // 000000006E84: D86C5540 71000015
	ds_read_b32 v116, v21 offset:23936                         // 000000006E8C: D86C5D80 74000015
	ds_read_b32 v117, v21 offset:24000                         // 000000006E94: D86C5DC0 75000015
	ds_read_b32 v120, v21 offset:26112                         // 000000006E9C: D86C6600 78000015
	ds_read_b32 v121, v21 offset:26176                         // 000000006EA4: D86C6640 79000015
	ds_read_b32 v124, v21 offset:28288                         // 000000006EAC: D86C6E80 7C000015
	ds_read_b32 v125, v21 offset:28352                         // 000000006EB4: D86C6EC0 7D000015
	s_waitcnt lgkmcnt(0)                                       // 000000006EBC: BF8CC07F
	s_mov_b32 s36, -1                                          // 000000006EC0: BEA400C1
	s_mov_b32 s37, -1                                          // 000000006EC4: BEA500C1
	v_mov_b32_e32 v7, 0                                        // 000000006EC8: 7E0E0280
	s_mov_b64 exec, s[36:37]                                   // 000000006ECC: BEFE0124
	v_mov_b32_e32 v6, v56                                      // 000000006ED0: 7E0C0338
	s_mov_b64 s[60:61], 0                                      // 000000006ED4: BEBC0180
	v_readlane_b32 s82, v3, 0                                  // 000000006ED8: D2890052 00010103
	s_and_b32 s82, s82, 0xffffff                               // 000000006EE0: 8652FF52 00FFFFFF
	s_cmp_lt_u32 s82, s66                                      // 000000006EE8: BF0A4252
	s_cselect_b32 s20, s36, s60                                // 000000006EEC: 85143C24
	v_readlane_b32 s82, v3, 1                                  // 000000006EF0: D2890052 00010303
	s_and_b32 s82, s82, 0xffffff                               // 000000006EF8: 8652FF52 00FFFFFF
	s_cmp_lt_u32 s82, s66                                      // 000000006F00: BF0A4252
	s_cselect_b32 s21, s36, s60                                // 000000006F04: 85153C24
	s_mov_b64 exec, s[20:21]                                   // 000000006F08: BEFE0114
	global_atomic_add_f32 v6, v72, s[8:9]                      // 000000006F0C: DD348000 00084806
	global_atomic_add_f32 v6, v76, s[8:9] offset:256           // 000000006F14: DD348100 00084C06
	s_mov_b64 exec, s[36:37]                                   // 000000006F1C: BEFE0124
	v_mov_b32_e32 v6, v57                                      // 000000006F20: 7E0C0339
	s_mov_b64 s[60:61], 0                                      // 000000006F24: BEBC0180
	v_readlane_b32 s82, v3, 2                                  // 000000006F28: D2890052 00010503
	s_and_b32 s82, s82, 0xffffff                               // 000000006F30: 8652FF52 00FFFFFF
	s_cmp_lt_u32 s82, s66                                      // 000000006F38: BF0A4252
	s_cselect_b32 s20, s36, s60                                // 000000006F3C: 85143C24
	v_readlane_b32 s82, v3, 3                                  // 000000006F40: D2890052 00010703
	s_and_b32 s82, s82, 0xffffff                               // 000000006F48: 8652FF52 00FFFFFF
	s_cmp_lt_u32 s82, s66                                      // 000000006F50: BF0A4252
	s_cselect_b32 s21, s36, s60                                // 000000006F54: 85153C24
	s_mov_b64 exec, s[20:21]                                   // 000000006F58: BEFE0114
	global_atomic_add_f32 v6, v73, s[8:9]                      // 000000006F5C: DD348000 00084906
	global_atomic_add_f32 v6, v77, s[8:9] offset:256           // 000000006F64: DD348100 00084D06
	s_mov_b64 exec, s[36:37]                                   // 000000006F6C: BEFE0124
	v_mov_b32_e32 v6, v58                                      // 000000006F70: 7E0C033A
	s_mov_b64 s[60:61], 0                                      // 000000006F74: BEBC0180
	v_readlane_b32 s82, v3, 4                                  // 000000006F78: D2890052 00010903
	s_and_b32 s82, s82, 0xffffff                               // 000000006F80: 8652FF52 00FFFFFF
	s_cmp_lt_u32 s82, s66                                      // 000000006F88: BF0A4252
	s_cselect_b32 s20, s36, s60                                // 000000006F8C: 85143C24
	v_readlane_b32 s82, v3, 5                                  // 000000006F90: D2890052 00010B03
	s_and_b32 s82, s82, 0xffffff                               // 000000006F98: 8652FF52 00FFFFFF
	s_cmp_lt_u32 s82, s66                                      // 000000006FA0: BF0A4252
	s_cselect_b32 s21, s36, s60                                // 000000006FA4: 85153C24
	s_mov_b64 exec, s[20:21]                                   // 000000006FA8: BEFE0114
	global_atomic_add_f32 v6, v80, s[8:9]                      // 000000006FAC: DD348000 00085006
	global_atomic_add_f32 v6, v84, s[8:9] offset:256           // 000000006FB4: DD348100 00085406
	s_mov_b64 exec, s[36:37]                                   // 000000006FBC: BEFE0124
	v_mov_b32_e32 v6, v59                                      // 000000006FC0: 7E0C033B
	s_mov_b64 s[60:61], 0                                      // 000000006FC4: BEBC0180
	v_readlane_b32 s82, v3, 6                                  // 000000006FC8: D2890052 00010D03
	s_and_b32 s82, s82, 0xffffff                               // 000000006FD0: 8652FF52 00FFFFFF
	s_cmp_lt_u32 s82, s66                                      // 000000006FD8: BF0A4252
	s_cselect_b32 s20, s36, s60                                // 000000006FDC: 85143C24
	v_readlane_b32 s82, v3, 7                                  // 000000006FE0: D2890052 00010F03
	s_and_b32 s82, s82, 0xffffff                               // 000000006FE8: 8652FF52 00FFFFFF
	s_cmp_lt_u32 s82, s66                                      // 000000006FF0: BF0A4252
	s_cselect_b32 s21, s36, s60                                // 000000006FF4: 85153C24
	s_mov_b64 exec, s[20:21]                                   // 000000006FF8: BEFE0114
	global_atomic_add_f32 v6, v81, s[8:9]                      // 000000006FFC: DD348000 00085106
	global_atomic_add_f32 v6, v85, s[8:9] offset:256           // 000000007004: DD348100 00085506
	s_mov_b64 exec, s[36:37]                                   // 00000000700C: BEFE0124
	v_mov_b32_e32 v6, v60                                      // 000000007010: 7E0C033C
	s_mov_b64 s[60:61], 0                                      // 000000007014: BEBC0180
	v_readlane_b32 s82, v3, 8                                  // 000000007018: D2890052 00011103
	s_and_b32 s82, s82, 0xffffff                               // 000000007020: 8652FF52 00FFFFFF
	s_cmp_lt_u32 s82, s66                                      // 000000007028: BF0A4252
	s_cselect_b32 s20, s36, s60                                // 00000000702C: 85143C24
	v_readlane_b32 s82, v3, 9                                  // 000000007030: D2890052 00011303
	s_and_b32 s82, s82, 0xffffff                               // 000000007038: 8652FF52 00FFFFFF
	s_cmp_lt_u32 s82, s66                                      // 000000007040: BF0A4252
	s_cselect_b32 s21, s36, s60                                // 000000007044: 85153C24
	s_mov_b64 exec, s[20:21]                                   // 000000007048: BEFE0114
	global_atomic_add_f32 v6, v88, s[8:9]                      // 00000000704C: DD348000 00085806
	global_atomic_add_f32 v6, v92, s[8:9] offset:256           // 000000007054: DD348100 00085C06
	s_mov_b64 exec, s[36:37]                                   // 00000000705C: BEFE0124
	v_mov_b32_e32 v6, v61                                      // 000000007060: 7E0C033D
	s_mov_b64 s[60:61], 0                                      // 000000007064: BEBC0180
	v_readlane_b32 s82, v3, 10                                 // 000000007068: D2890052 00011503
	s_and_b32 s82, s82, 0xffffff                               // 000000007070: 8652FF52 00FFFFFF
	s_cmp_lt_u32 s82, s66                                      // 000000007078: BF0A4252
	s_cselect_b32 s20, s36, s60                                // 00000000707C: 85143C24
	v_readlane_b32 s82, v3, 11                                 // 000000007080: D2890052 00011703
	s_and_b32 s82, s82, 0xffffff                               // 000000007088: 8652FF52 00FFFFFF
	s_cmp_lt_u32 s82, s66                                      // 000000007090: BF0A4252
	s_cselect_b32 s21, s36, s60                                // 000000007094: 85153C24
	s_mov_b64 exec, s[20:21]                                   // 000000007098: BEFE0114
	global_atomic_add_f32 v6, v89, s[8:9]                      // 00000000709C: DD348000 00085906
	global_atomic_add_f32 v6, v93, s[8:9] offset:256           // 0000000070A4: DD348100 00085D06
	s_mov_b64 exec, s[36:37]                                   // 0000000070AC: BEFE0124
	v_mov_b32_e32 v6, v62                                      // 0000000070B0: 7E0C033E
	s_mov_b64 s[60:61], 0                                      // 0000000070B4: BEBC0180
	v_readlane_b32 s82, v3, 12                                 // 0000000070B8: D2890052 00011903
	s_and_b32 s82, s82, 0xffffff                               // 0000000070C0: 8652FF52 00FFFFFF
	s_cmp_lt_u32 s82, s66                                      // 0000000070C8: BF0A4252
	s_cselect_b32 s20, s36, s60                                // 0000000070CC: 85143C24
	v_readlane_b32 s82, v3, 13                                 // 0000000070D0: D2890052 00011B03
	s_and_b32 s82, s82, 0xffffff                               // 0000000070D8: 8652FF52 00FFFFFF
	s_cmp_lt_u32 s82, s66                                      // 0000000070E0: BF0A4252
	s_cselect_b32 s21, s36, s60                                // 0000000070E4: 85153C24
	s_mov_b64 exec, s[20:21]                                   // 0000000070E8: BEFE0114
	global_atomic_add_f32 v6, v96, s[8:9]                      // 0000000070EC: DD348000 00086006
	global_atomic_add_f32 v6, v100, s[8:9] offset:256          // 0000000070F4: DD348100 00086406
	s_mov_b64 exec, s[36:37]                                   // 0000000070FC: BEFE0124
	v_mov_b32_e32 v6, v63                                      // 000000007100: 7E0C033F
	s_mov_b64 s[60:61], 0                                      // 000000007104: BEBC0180
	v_readlane_b32 s82, v3, 14                                 // 000000007108: D2890052 00011D03
	s_and_b32 s82, s82, 0xffffff                               // 000000007110: 8652FF52 00FFFFFF
	s_cmp_lt_u32 s82, s66                                      // 000000007118: BF0A4252
	s_cselect_b32 s20, s36, s60                                // 00000000711C: 85143C24
	v_readlane_b32 s82, v3, 15                                 // 000000007120: D2890052 00011F03
	s_and_b32 s82, s82, 0xffffff                               // 000000007128: 8652FF52 00FFFFFF
	s_cmp_lt_u32 s82, s66                                      // 000000007130: BF0A4252
	s_cselect_b32 s21, s36, s60                                // 000000007134: 85153C24
	s_mov_b64 exec, s[20:21]                                   // 000000007138: BEFE0114
	global_atomic_add_f32 v6, v97, s[8:9]                      // 00000000713C: DD348000 00086106
	global_atomic_add_f32 v6, v101, s[8:9] offset:256          // 000000007144: DD348100 00086506
	s_mov_b64 exec, s[36:37]                                   // 00000000714C: BEFE0124
	v_mov_b32_e32 v6, v64                                      // 000000007150: 7E0C0340
	s_mov_b64 s[60:61], 0                                      // 000000007154: BEBC0180
	v_readlane_b32 s82, v3, 16                                 // 000000007158: D2890052 00012103
	s_and_b32 s82, s82, 0xffffff                               // 000000007160: 8652FF52 00FFFFFF
	s_cmp_lt_u32 s82, s66                                      // 000000007168: BF0A4252
	s_cselect_b32 s20, s36, s60                                // 00000000716C: 85143C24
	v_readlane_b32 s82, v3, 17                                 // 000000007170: D2890052 00012303
	s_and_b32 s82, s82, 0xffffff                               // 000000007178: 8652FF52 00FFFFFF
	s_cmp_lt_u32 s82, s66                                      // 000000007180: BF0A4252
	s_cselect_b32 s21, s36, s60                                // 000000007184: 85153C24
	s_mov_b64 exec, s[20:21]                                   // 000000007188: BEFE0114
	global_atomic_add_f32 v6, v104, s[8:9]                     // 00000000718C: DD348000 00086806
	global_atomic_add_f32 v6, v108, s[8:9] offset:256          // 000000007194: DD348100 00086C06
	s_mov_b64 exec, s[36:37]                                   // 00000000719C: BEFE0124
	v_mov_b32_e32 v6, v65                                      // 0000000071A0: 7E0C0341
	s_mov_b64 s[60:61], 0                                      // 0000000071A4: BEBC0180
	v_readlane_b32 s82, v3, 18                                 // 0000000071A8: D2890052 00012503
	s_and_b32 s82, s82, 0xffffff                               // 0000000071B0: 8652FF52 00FFFFFF
	s_cmp_lt_u32 s82, s66                                      // 0000000071B8: BF0A4252
	s_cselect_b32 s20, s36, s60                                // 0000000071BC: 85143C24
	v_readlane_b32 s82, v3, 19                                 // 0000000071C0: D2890052 00012703
	s_and_b32 s82, s82, 0xffffff                               // 0000000071C8: 8652FF52 00FFFFFF
	s_cmp_lt_u32 s82, s66                                      // 0000000071D0: BF0A4252
	s_cselect_b32 s21, s36, s60                                // 0000000071D4: 85153C24
	s_mov_b64 exec, s[20:21]                                   // 0000000071D8: BEFE0114
	global_atomic_add_f32 v6, v105, s[8:9]                     // 0000000071DC: DD348000 00086906
	global_atomic_add_f32 v6, v109, s[8:9] offset:256          // 0000000071E4: DD348100 00086D06
	s_mov_b64 exec, s[36:37]                                   // 0000000071EC: BEFE0124
	v_mov_b32_e32 v6, v66                                      // 0000000071F0: 7E0C0342
	s_mov_b64 s[60:61], 0                                      // 0000000071F4: BEBC0180
	v_readlane_b32 s82, v3, 20                                 // 0000000071F8: D2890052 00012903
	s_and_b32 s82, s82, 0xffffff                               // 000000007200: 8652FF52 00FFFFFF
	s_cmp_lt_u32 s82, s66                                      // 000000007208: BF0A4252
	s_cselect_b32 s20, s36, s60                                // 00000000720C: 85143C24
	v_readlane_b32 s82, v3, 21                                 // 000000007210: D2890052 00012B03
	s_and_b32 s82, s82, 0xffffff                               // 000000007218: 8652FF52 00FFFFFF
	s_cmp_lt_u32 s82, s66                                      // 000000007220: BF0A4252
	s_cselect_b32 s21, s36, s60                                // 000000007224: 85153C24
	s_mov_b64 exec, s[20:21]                                   // 000000007228: BEFE0114
	global_atomic_add_f32 v6, v112, s[8:9]                     // 00000000722C: DD348000 00087006
	global_atomic_add_f32 v6, v116, s[8:9] offset:256          // 000000007234: DD348100 00087406
	s_mov_b64 exec, s[36:37]                                   // 00000000723C: BEFE0124
	v_mov_b32_e32 v6, v67                                      // 000000007240: 7E0C0343
	s_mov_b64 s[60:61], 0                                      // 000000007244: BEBC0180
	v_readlane_b32 s82, v3, 22                                 // 000000007248: D2890052 00012D03
	s_and_b32 s82, s82, 0xffffff                               // 000000007250: 8652FF52 00FFFFFF
	s_cmp_lt_u32 s82, s66                                      // 000000007258: BF0A4252
	s_cselect_b32 s20, s36, s60                                // 00000000725C: 85143C24
	v_readlane_b32 s82, v3, 23                                 // 000000007260: D2890052 00012F03
	s_and_b32 s82, s82, 0xffffff                               // 000000007268: 8652FF52 00FFFFFF
	s_cmp_lt_u32 s82, s66                                      // 000000007270: BF0A4252
	s_cselect_b32 s21, s36, s60                                // 000000007274: 85153C24
	s_mov_b64 exec, s[20:21]                                   // 000000007278: BEFE0114
	global_atomic_add_f32 v6, v113, s[8:9]                     // 00000000727C: DD348000 00087106
	global_atomic_add_f32 v6, v117, s[8:9] offset:256          // 000000007284: DD348100 00087506
	s_mov_b64 exec, s[36:37]                                   // 00000000728C: BEFE0124
	v_mov_b32_e32 v6, v68                                      // 000000007290: 7E0C0344
	s_mov_b64 s[60:61], 0                                      // 000000007294: BEBC0180
	v_readlane_b32 s82, v3, 24                                 // 000000007298: D2890052 00013103
	s_and_b32 s82, s82, 0xffffff                               // 0000000072A0: 8652FF52 00FFFFFF
	s_cmp_lt_u32 s82, s66                                      // 0000000072A8: BF0A4252
	s_cselect_b32 s20, s36, s60                                // 0000000072AC: 85143C24
	v_readlane_b32 s82, v3, 25                                 // 0000000072B0: D2890052 00013303
	s_and_b32 s82, s82, 0xffffff                               // 0000000072B8: 8652FF52 00FFFFFF
	s_cmp_lt_u32 s82, s66                                      // 0000000072C0: BF0A4252
	s_cselect_b32 s21, s36, s60                                // 0000000072C4: 85153C24
	s_mov_b64 exec, s[20:21]                                   // 0000000072C8: BEFE0114
	global_atomic_add_f32 v6, v120, s[8:9]                     // 0000000072CC: DD348000 00087806
	global_atomic_add_f32 v6, v124, s[8:9] offset:256          // 0000000072D4: DD348100 00087C06
	s_mov_b64 exec, s[36:37]                                   // 0000000072DC: BEFE0124
	v_mov_b32_e32 v6, v69                                      // 0000000072E0: 7E0C0345
	s_mov_b64 s[60:61], 0                                      // 0000000072E4: BEBC0180
	v_readlane_b32 s82, v3, 26                                 // 0000000072E8: D2890052 00013503
	s_and_b32 s82, s82, 0xffffff                               // 0000000072F0: 8652FF52 00FFFFFF
	s_cmp_lt_u32 s82, s66                                      // 0000000072F8: BF0A4252
	s_cselect_b32 s20, s36, s60                                // 0000000072FC: 85143C24
	v_readlane_b32 s82, v3, 27                                 // 000000007300: D2890052 00013703
	s_and_b32 s82, s82, 0xffffff                               // 000000007308: 8652FF52 00FFFFFF
	s_cmp_lt_u32 s82, s66                                      // 000000007310: BF0A4252
	s_cselect_b32 s21, s36, s60                                // 000000007314: 85153C24
	s_mov_b64 exec, s[20:21]                                   // 000000007318: BEFE0114
	global_atomic_add_f32 v6, v121, s[8:9]                     // 00000000731C: DD348000 00087906
	global_atomic_add_f32 v6, v125, s[8:9] offset:256          // 000000007324: DD348100 00087D06
	s_mov_b64 exec, s[36:37]                                   // 00000000732C: BEFE0124
	ds_write_b64 v20, v[74:75]                                 // 000000007330: D89A0000 00004A14
	ds_write_b64 v20, v[78:79] offset:4352                     // 000000007338: D89A1100 00004E14
	ds_write_b64 v20, v[82:83] offset:8704                     // 000000007340: D89A2200 00005214
	ds_write_b64 v20, v[86:87] offset:13056                    // 000000007348: D89A3300 00005614
	ds_write_b64 v20, v[90:91] offset:17408                    // 000000007350: D89A4400 00005A14
	ds_write_b64 v20, v[94:95] offset:21760                    // 000000007358: D89A5500 00005E14
	ds_write_b64 v20, v[98:99] offset:26112                    // 000000007360: D89A6600 00006214
	ds_write_b64 v20, v[102:103] offset:2176                   // 000000007368: D89A0880 00006614
	ds_write_b64 v20, v[106:107] offset:6528                   // 000000007370: D89A1980 00006A14
	ds_write_b64 v20, v[110:111] offset:10880                  // 000000007378: D89A2A80 00006E14
	ds_write_b64 v20, v[114:115] offset:15232                  // 000000007380: D89A3B80 00007214
	ds_write_b64 v20, v[118:119] offset:19584                  // 000000007388: D89A4C80 00007614
	ds_write_b64 v20, v[122:123] offset:23936                  // 000000007390: D89A5D80 00007A14
	ds_write_b64 v20, v[126:127] offset:28288                  // 000000007398: D89A6E80 00007E14
	s_waitcnt lgkmcnt(0)                                       // 0000000073A0: BF8CC07F
	s_barrier                                                  // 0000000073A4: BF8A0000
	ds_read_b32 v74, v21                                       // 0000000073A8: D86C0000 4A000015
	ds_read_b32 v75, v21 offset:64                             // 0000000073B0: D86C0040 4B000015
	ds_read_b32 v78, v21 offset:2176                           // 0000000073B8: D86C0880 4E000015
	ds_read_b32 v79, v21 offset:2240                           // 0000000073C0: D86C08C0 4F000015
	ds_read_b32 v82, v21 offset:4352                           // 0000000073C8: D86C1100 52000015
	ds_read_b32 v83, v21 offset:4416                           // 0000000073D0: D86C1140 53000015
	ds_read_b32 v86, v21 offset:6528                           // 0000000073D8: D86C1980 56000015
	ds_read_b32 v87, v21 offset:6592                           // 0000000073E0: D86C19C0 57000015
	ds_read_b32 v90, v21 offset:8704                           // 0000000073E8: D86C2200 5A000015
	ds_read_b32 v91, v21 offset:8768                           // 0000000073F0: D86C2240 5B000015
	ds_read_b32 v94, v21 offset:10880                          // 0000000073F8: D86C2A80 5E000015
	ds_read_b32 v95, v21 offset:10944                          // 000000007400: D86C2AC0 5F000015
	ds_read_b32 v98, v21 offset:13056                          // 000000007408: D86C3300 62000015
	ds_read_b32 v99, v21 offset:13120                          // 000000007410: D86C3340 63000015
	ds_read_b32 v102, v21 offset:15232                         // 000000007418: D86C3B80 66000015
	ds_read_b32 v103, v21 offset:15296                         // 000000007420: D86C3BC0 67000015
	ds_read_b32 v106, v21 offset:17408                         // 000000007428: D86C4400 6A000015
	ds_read_b32 v107, v21 offset:17472                         // 000000007430: D86C4440 6B000015
	ds_read_b32 v110, v21 offset:19584                         // 000000007438: D86C4C80 6E000015
	ds_read_b32 v111, v21 offset:19648                         // 000000007440: D86C4CC0 6F000015
	ds_read_b32 v114, v21 offset:21760                         // 000000007448: D86C5500 72000015
	ds_read_b32 v115, v21 offset:21824                         // 000000007450: D86C5540 73000015
	ds_read_b32 v118, v21 offset:23936                         // 000000007458: D86C5D80 76000015
	ds_read_b32 v119, v21 offset:24000                         // 000000007460: D86C5DC0 77000015
	ds_read_b32 v122, v21 offset:26112                         // 000000007468: D86C6600 7A000015
	ds_read_b32 v123, v21 offset:26176                         // 000000007470: D86C6640 7B000015
	ds_read_b32 v126, v21 offset:28288                         // 000000007478: D86C6E80 7E000015
	ds_read_b32 v127, v21 offset:28352                         // 000000007480: D86C6EC0 7F000015
	s_waitcnt lgkmcnt(0)                                       // 000000007488: BF8CC07F
	v_mov_b32_e32 v7, 0                                        // 00000000748C: 7E0E0280
	s_mov_b64 exec, s[36:37]                                   // 000000007490: BEFE0124
	v_mov_b32_e32 v6, v56                                      // 000000007494: 7E0C0338
	s_mov_b64 s[60:61], 0                                      // 000000007498: BEBC0180
	v_readlane_b32 s82, v3, 0                                  // 00000000749C: D2890052 00010103
	s_and_b32 s82, s82, 0xffffff                               // 0000000074A4: 8652FF52 00FFFFFF
	s_cmp_lt_u32 s82, s66                                      // 0000000074AC: BF0A4252
	s_cselect_b32 s20, s36, s60                                // 0000000074B0: 85143C24
	v_readlane_b32 s82, v3, 1                                  // 0000000074B4: D2890052 00010303
	s_and_b32 s82, s82, 0xffffff                               // 0000000074BC: 8652FF52 00FFFFFF
	s_cmp_lt_u32 s82, s66                                      // 0000000074C4: BF0A4252
	s_cselect_b32 s21, s36, s60                                // 0000000074C8: 85153C24
	s_mov_b64 exec, s[20:21]                                   // 0000000074CC: BEFE0114
	global_atomic_add_f32 v6, v74, s[8:9] offset:8             // 0000000074D0: DD348008 00084A06
	global_atomic_add_f32 v6, v78, s[8:9] offset:264           // 0000000074D8: DD348108 00084E06
	s_mov_b64 exec, s[36:37]                                   // 0000000074E0: BEFE0124
	v_mov_b32_e32 v6, v57                                      // 0000000074E4: 7E0C0339
	s_mov_b64 s[60:61], 0                                      // 0000000074E8: BEBC0180
	v_readlane_b32 s82, v3, 2                                  // 0000000074EC: D2890052 00010503
	s_and_b32 s82, s82, 0xffffff                               // 0000000074F4: 8652FF52 00FFFFFF
	s_cmp_lt_u32 s82, s66                                      // 0000000074FC: BF0A4252
	s_cselect_b32 s20, s36, s60                                // 000000007500: 85143C24
	v_readlane_b32 s82, v3, 3                                  // 000000007504: D2890052 00010703
	s_and_b32 s82, s82, 0xffffff                               // 00000000750C: 8652FF52 00FFFFFF
	s_cmp_lt_u32 s82, s66                                      // 000000007514: BF0A4252
	s_cselect_b32 s21, s36, s60                                // 000000007518: 85153C24
	s_mov_b64 exec, s[20:21]                                   // 00000000751C: BEFE0114
	global_atomic_add_f32 v6, v75, s[8:9] offset:8             // 000000007520: DD348008 00084B06
	global_atomic_add_f32 v6, v79, s[8:9] offset:264           // 000000007528: DD348108 00084F06
	s_mov_b64 exec, s[36:37]                                   // 000000007530: BEFE0124
	v_mov_b32_e32 v6, v58                                      // 000000007534: 7E0C033A
	s_mov_b64 s[60:61], 0                                      // 000000007538: BEBC0180
	v_readlane_b32 s82, v3, 4                                  // 00000000753C: D2890052 00010903
	s_and_b32 s82, s82, 0xffffff                               // 000000007544: 8652FF52 00FFFFFF
	s_cmp_lt_u32 s82, s66                                      // 00000000754C: BF0A4252
	s_cselect_b32 s20, s36, s60                                // 000000007550: 85143C24
	v_readlane_b32 s82, v3, 5                                  // 000000007554: D2890052 00010B03
	s_and_b32 s82, s82, 0xffffff                               // 00000000755C: 8652FF52 00FFFFFF
	s_cmp_lt_u32 s82, s66                                      // 000000007564: BF0A4252
	s_cselect_b32 s21, s36, s60                                // 000000007568: 85153C24
	s_mov_b64 exec, s[20:21]                                   // 00000000756C: BEFE0114
	global_atomic_add_f32 v6, v82, s[8:9] offset:8             // 000000007570: DD348008 00085206
	global_atomic_add_f32 v6, v86, s[8:9] offset:264           // 000000007578: DD348108 00085606
	s_mov_b64 exec, s[36:37]                                   // 000000007580: BEFE0124
	v_mov_b32_e32 v6, v59                                      // 000000007584: 7E0C033B
	s_mov_b64 s[60:61], 0                                      // 000000007588: BEBC0180
	v_readlane_b32 s82, v3, 6                                  // 00000000758C: D2890052 00010D03
	s_and_b32 s82, s82, 0xffffff                               // 000000007594: 8652FF52 00FFFFFF
	s_cmp_lt_u32 s82, s66                                      // 00000000759C: BF0A4252
	s_cselect_b32 s20, s36, s60                                // 0000000075A0: 85143C24
	v_readlane_b32 s82, v3, 7                                  // 0000000075A4: D2890052 00010F03
	s_and_b32 s82, s82, 0xffffff                               // 0000000075AC: 8652FF52 00FFFFFF
	s_cmp_lt_u32 s82, s66                                      // 0000000075B4: BF0A4252
	s_cselect_b32 s21, s36, s60                                // 0000000075B8: 85153C24
	s_mov_b64 exec, s[20:21]                                   // 0000000075BC: BEFE0114
	global_atomic_add_f32 v6, v83, s[8:9] offset:8             // 0000000075C0: DD348008 00085306
	global_atomic_add_f32 v6, v87, s[8:9] offset:264           // 0000000075C8: DD348108 00085706
	s_mov_b64 exec, s[36:37]                                   // 0000000075D0: BEFE0124
	v_mov_b32_e32 v6, v60                                      // 0000000075D4: 7E0C033C
	s_mov_b64 s[60:61], 0                                      // 0000000075D8: BEBC0180
	v_readlane_b32 s82, v3, 8                                  // 0000000075DC: D2890052 00011103
	s_and_b32 s82, s82, 0xffffff                               // 0000000075E4: 8652FF52 00FFFFFF
	s_cmp_lt_u32 s82, s66                                      // 0000000075EC: BF0A4252
	s_cselect_b32 s20, s36, s60                                // 0000000075F0: 85143C24
	v_readlane_b32 s82, v3, 9                                  // 0000000075F4: D2890052 00011303
	s_and_b32 s82, s82, 0xffffff                               // 0000000075FC: 8652FF52 00FFFFFF
	s_cmp_lt_u32 s82, s66                                      // 000000007604: BF0A4252
	s_cselect_b32 s21, s36, s60                                // 000000007608: 85153C24
	s_mov_b64 exec, s[20:21]                                   // 00000000760C: BEFE0114
	global_atomic_add_f32 v6, v90, s[8:9] offset:8             // 000000007610: DD348008 00085A06
	global_atomic_add_f32 v6, v94, s[8:9] offset:264           // 000000007618: DD348108 00085E06
	s_mov_b64 exec, s[36:37]                                   // 000000007620: BEFE0124
	v_mov_b32_e32 v6, v61                                      // 000000007624: 7E0C033D
	s_mov_b64 s[60:61], 0                                      // 000000007628: BEBC0180
	v_readlane_b32 s82, v3, 10                                 // 00000000762C: D2890052 00011503
	s_and_b32 s82, s82, 0xffffff                               // 000000007634: 8652FF52 00FFFFFF
	s_cmp_lt_u32 s82, s66                                      // 00000000763C: BF0A4252
	s_cselect_b32 s20, s36, s60                                // 000000007640: 85143C24
	v_readlane_b32 s82, v3, 11                                 // 000000007644: D2890052 00011703
	s_and_b32 s82, s82, 0xffffff                               // 00000000764C: 8652FF52 00FFFFFF
	s_cmp_lt_u32 s82, s66                                      // 000000007654: BF0A4252
	s_cselect_b32 s21, s36, s60                                // 000000007658: 85153C24
	s_mov_b64 exec, s[20:21]                                   // 00000000765C: BEFE0114
	global_atomic_add_f32 v6, v91, s[8:9] offset:8             // 000000007660: DD348008 00085B06
	global_atomic_add_f32 v6, v95, s[8:9] offset:264           // 000000007668: DD348108 00085F06
	s_mov_b64 exec, s[36:37]                                   // 000000007670: BEFE0124
	v_mov_b32_e32 v6, v62                                      // 000000007674: 7E0C033E
	s_mov_b64 s[60:61], 0                                      // 000000007678: BEBC0180
	v_readlane_b32 s82, v3, 12                                 // 00000000767C: D2890052 00011903
	s_and_b32 s82, s82, 0xffffff                               // 000000007684: 8652FF52 00FFFFFF
	s_cmp_lt_u32 s82, s66                                      // 00000000768C: BF0A4252
	s_cselect_b32 s20, s36, s60                                // 000000007690: 85143C24
	v_readlane_b32 s82, v3, 13                                 // 000000007694: D2890052 00011B03
	s_and_b32 s82, s82, 0xffffff                               // 00000000769C: 8652FF52 00FFFFFF
	s_cmp_lt_u32 s82, s66                                      // 0000000076A4: BF0A4252
	s_cselect_b32 s21, s36, s60                                // 0000000076A8: 85153C24
	s_mov_b64 exec, s[20:21]                                   // 0000000076AC: BEFE0114
	global_atomic_add_f32 v6, v98, s[8:9] offset:8             // 0000000076B0: DD348008 00086206
	global_atomic_add_f32 v6, v102, s[8:9] offset:264          // 0000000076B8: DD348108 00086606
	s_mov_b64 exec, s[36:37]                                   // 0000000076C0: BEFE0124
	v_mov_b32_e32 v6, v63                                      // 0000000076C4: 7E0C033F
	s_mov_b64 s[60:61], 0                                      // 0000000076C8: BEBC0180
	v_readlane_b32 s82, v3, 14                                 // 0000000076CC: D2890052 00011D03
	s_and_b32 s82, s82, 0xffffff                               // 0000000076D4: 8652FF52 00FFFFFF
	s_cmp_lt_u32 s82, s66                                      // 0000000076DC: BF0A4252
	s_cselect_b32 s20, s36, s60                                // 0000000076E0: 85143C24
	v_readlane_b32 s82, v3, 15                                 // 0000000076E4: D2890052 00011F03
	s_and_b32 s82, s82, 0xffffff                               // 0000000076EC: 8652FF52 00FFFFFF
	s_cmp_lt_u32 s82, s66                                      // 0000000076F4: BF0A4252
	s_cselect_b32 s21, s36, s60                                // 0000000076F8: 85153C24
	s_mov_b64 exec, s[20:21]                                   // 0000000076FC: BEFE0114
	global_atomic_add_f32 v6, v99, s[8:9] offset:8             // 000000007700: DD348008 00086306
	global_atomic_add_f32 v6, v103, s[8:9] offset:264          // 000000007708: DD348108 00086706
	s_mov_b64 exec, s[36:37]                                   // 000000007710: BEFE0124
	v_mov_b32_e32 v6, v64                                      // 000000007714: 7E0C0340
	s_mov_b64 s[60:61], 0                                      // 000000007718: BEBC0180
	v_readlane_b32 s82, v3, 16                                 // 00000000771C: D2890052 00012103
	s_and_b32 s82, s82, 0xffffff                               // 000000007724: 8652FF52 00FFFFFF
	s_cmp_lt_u32 s82, s66                                      // 00000000772C: BF0A4252
	s_cselect_b32 s20, s36, s60                                // 000000007730: 85143C24
	v_readlane_b32 s82, v3, 17                                 // 000000007734: D2890052 00012303
	s_and_b32 s82, s82, 0xffffff                               // 00000000773C: 8652FF52 00FFFFFF
	s_cmp_lt_u32 s82, s66                                      // 000000007744: BF0A4252
	s_cselect_b32 s21, s36, s60                                // 000000007748: 85153C24
	s_mov_b64 exec, s[20:21]                                   // 00000000774C: BEFE0114
	global_atomic_add_f32 v6, v106, s[8:9] offset:8            // 000000007750: DD348008 00086A06
	global_atomic_add_f32 v6, v110, s[8:9] offset:264          // 000000007758: DD348108 00086E06
	s_mov_b64 exec, s[36:37]                                   // 000000007760: BEFE0124
	v_mov_b32_e32 v6, v65                                      // 000000007764: 7E0C0341
	s_mov_b64 s[60:61], 0                                      // 000000007768: BEBC0180
	v_readlane_b32 s82, v3, 18                                 // 00000000776C: D2890052 00012503
	s_and_b32 s82, s82, 0xffffff                               // 000000007774: 8652FF52 00FFFFFF
	s_cmp_lt_u32 s82, s66                                      // 00000000777C: BF0A4252
	s_cselect_b32 s20, s36, s60                                // 000000007780: 85143C24
	v_readlane_b32 s82, v3, 19                                 // 000000007784: D2890052 00012703
	s_and_b32 s82, s82, 0xffffff                               // 00000000778C: 8652FF52 00FFFFFF
	s_cmp_lt_u32 s82, s66                                      // 000000007794: BF0A4252
	s_cselect_b32 s21, s36, s60                                // 000000007798: 85153C24
	s_mov_b64 exec, s[20:21]                                   // 00000000779C: BEFE0114
	global_atomic_add_f32 v6, v107, s[8:9] offset:8            // 0000000077A0: DD348008 00086B06
	global_atomic_add_f32 v6, v111, s[8:9] offset:264          // 0000000077A8: DD348108 00086F06
	s_mov_b64 exec, s[36:37]                                   // 0000000077B0: BEFE0124
	v_mov_b32_e32 v6, v66                                      // 0000000077B4: 7E0C0342
	s_mov_b64 s[60:61], 0                                      // 0000000077B8: BEBC0180
	v_readlane_b32 s82, v3, 20                                 // 0000000077BC: D2890052 00012903
	s_and_b32 s82, s82, 0xffffff                               // 0000000077C4: 8652FF52 00FFFFFF
	s_cmp_lt_u32 s82, s66                                      // 0000000077CC: BF0A4252
	s_cselect_b32 s20, s36, s60                                // 0000000077D0: 85143C24
	v_readlane_b32 s82, v3, 21                                 // 0000000077D4: D2890052 00012B03
	s_and_b32 s82, s82, 0xffffff                               // 0000000077DC: 8652FF52 00FFFFFF
	s_cmp_lt_u32 s82, s66                                      // 0000000077E4: BF0A4252
	s_cselect_b32 s21, s36, s60                                // 0000000077E8: 85153C24
	s_mov_b64 exec, s[20:21]                                   // 0000000077EC: BEFE0114
	global_atomic_add_f32 v6, v114, s[8:9] offset:8            // 0000000077F0: DD348008 00087206
	global_atomic_add_f32 v6, v118, s[8:9] offset:264          // 0000000077F8: DD348108 00087606
	s_mov_b64 exec, s[36:37]                                   // 000000007800: BEFE0124
	v_mov_b32_e32 v6, v67                                      // 000000007804: 7E0C0343
	s_mov_b64 s[60:61], 0                                      // 000000007808: BEBC0180
	v_readlane_b32 s82, v3, 22                                 // 00000000780C: D2890052 00012D03
	s_and_b32 s82, s82, 0xffffff                               // 000000007814: 8652FF52 00FFFFFF
	s_cmp_lt_u32 s82, s66                                      // 00000000781C: BF0A4252
	s_cselect_b32 s20, s36, s60                                // 000000007820: 85143C24
	v_readlane_b32 s82, v3, 23                                 // 000000007824: D2890052 00012F03
	s_and_b32 s82, s82, 0xffffff                               // 00000000782C: 8652FF52 00FFFFFF
	s_cmp_lt_u32 s82, s66                                      // 000000007834: BF0A4252
	s_cselect_b32 s21, s36, s60                                // 000000007838: 85153C24
	s_mov_b64 exec, s[20:21]                                   // 00000000783C: BEFE0114
	global_atomic_add_f32 v6, v115, s[8:9] offset:8            // 000000007840: DD348008 00087306
	global_atomic_add_f32 v6, v119, s[8:9] offset:264          // 000000007848: DD348108 00087706
	s_mov_b64 exec, s[36:37]                                   // 000000007850: BEFE0124
	v_mov_b32_e32 v6, v68                                      // 000000007854: 7E0C0344
	s_mov_b64 s[60:61], 0                                      // 000000007858: BEBC0180
	v_readlane_b32 s82, v3, 24                                 // 00000000785C: D2890052 00013103
	s_and_b32 s82, s82, 0xffffff                               // 000000007864: 8652FF52 00FFFFFF
	s_cmp_lt_u32 s82, s66                                      // 00000000786C: BF0A4252
	s_cselect_b32 s20, s36, s60                                // 000000007870: 85143C24
	v_readlane_b32 s82, v3, 25                                 // 000000007874: D2890052 00013303
	s_and_b32 s82, s82, 0xffffff                               // 00000000787C: 8652FF52 00FFFFFF
	s_cmp_lt_u32 s82, s66                                      // 000000007884: BF0A4252
	s_cselect_b32 s21, s36, s60                                // 000000007888: 85153C24
	s_mov_b64 exec, s[20:21]                                   // 00000000788C: BEFE0114
	global_atomic_add_f32 v6, v122, s[8:9] offset:8            // 000000007890: DD348008 00087A06
	global_atomic_add_f32 v6, v126, s[8:9] offset:264          // 000000007898: DD348108 00087E06
	s_mov_b64 exec, s[36:37]                                   // 0000000078A0: BEFE0124
	v_mov_b32_e32 v6, v69                                      // 0000000078A4: 7E0C0345
	s_mov_b64 s[60:61], 0                                      // 0000000078A8: BEBC0180
	v_readlane_b32 s82, v3, 26                                 // 0000000078AC: D2890052 00013503
	s_and_b32 s82, s82, 0xffffff                               // 0000000078B4: 8652FF52 00FFFFFF
	s_cmp_lt_u32 s82, s66                                      // 0000000078BC: BF0A4252
	s_cselect_b32 s20, s36, s60                                // 0000000078C0: 85143C24
	v_readlane_b32 s82, v3, 27                                 // 0000000078C4: D2890052 00013703
	s_and_b32 s82, s82, 0xffffff                               // 0000000078CC: 8652FF52 00FFFFFF
	s_cmp_lt_u32 s82, s66                                      // 0000000078D4: BF0A4252
	s_cselect_b32 s21, s36, s60                                // 0000000078D8: 85153C24
	s_mov_b64 exec, s[20:21]                                   // 0000000078DC: BEFE0114
	global_atomic_add_f32 v6, v123, s[8:9] offset:8            // 0000000078E0: DD348008 00087B06
	global_atomic_add_f32 v6, v127, s[8:9] offset:264          // 0000000078E8: DD348108 00087F06
	s_mov_b64 exec, s[36:37]                                   // 0000000078F0: BEFE0124
	ds_write_b64 v20, v[128:129]                               // 0000000078F4: D89A0000 00008014
	ds_write_b64 v20, v[132:133] offset:4352                   // 0000000078FC: D89A1100 00008414
	ds_write_b64 v20, v[136:137] offset:8704                   // 000000007904: D89A2200 00008814
	ds_write_b64 v20, v[140:141] offset:13056                  // 00000000790C: D89A3300 00008C14
	ds_write_b64 v20, v[144:145] offset:17408                  // 000000007914: D89A4400 00009014
	ds_write_b64 v20, v[148:149] offset:21760                  // 00000000791C: D89A5500 00009414
	ds_write_b64 v20, v[152:153] offset:26112                  // 000000007924: D89A6600 00009814
	ds_write_b64 v20, v[156:157] offset:2176                   // 00000000792C: D89A0880 00009C14
	ds_write_b64 v20, v[160:161] offset:6528                   // 000000007934: D89A1980 0000A014
	ds_write_b64 v20, v[164:165] offset:10880                  // 00000000793C: D89A2A80 0000A414
	ds_write_b64 v20, v[168:169] offset:15232                  // 000000007944: D89A3B80 0000A814
	ds_write_b64 v20, v[172:173] offset:19584                  // 00000000794C: D89A4C80 0000AC14
	ds_write_b64 v20, v[176:177] offset:23936                  // 000000007954: D89A5D80 0000B014
	ds_write_b64 v20, v[180:181] offset:28288                  // 00000000795C: D89A6E80 0000B414
	s_waitcnt lgkmcnt(0)                                       // 000000007964: BF8CC07F
	s_barrier                                                  // 000000007968: BF8A0000
	ds_read_b32 v128, v21                                      // 00000000796C: D86C0000 80000015
	ds_read_b32 v129, v21 offset:64                            // 000000007974: D86C0040 81000015
	ds_read_b32 v132, v21 offset:2176                          // 00000000797C: D86C0880 84000015
	ds_read_b32 v133, v21 offset:2240                          // 000000007984: D86C08C0 85000015
	ds_read_b32 v136, v21 offset:4352                          // 00000000798C: D86C1100 88000015
	ds_read_b32 v137, v21 offset:4416                          // 000000007994: D86C1140 89000015
	ds_read_b32 v140, v21 offset:6528                          // 00000000799C: D86C1980 8C000015
	ds_read_b32 v141, v21 offset:6592                          // 0000000079A4: D86C19C0 8D000015
	ds_read_b32 v144, v21 offset:8704                          // 0000000079AC: D86C2200 90000015
	ds_read_b32 v145, v21 offset:8768                          // 0000000079B4: D86C2240 91000015
	ds_read_b32 v148, v21 offset:10880                         // 0000000079BC: D86C2A80 94000015
	ds_read_b32 v149, v21 offset:10944                         // 0000000079C4: D86C2AC0 95000015
	ds_read_b32 v152, v21 offset:13056                         // 0000000079CC: D86C3300 98000015
	ds_read_b32 v153, v21 offset:13120                         // 0000000079D4: D86C3340 99000015
	ds_read_b32 v156, v21 offset:15232                         // 0000000079DC: D86C3B80 9C000015
	ds_read_b32 v157, v21 offset:15296                         // 0000000079E4: D86C3BC0 9D000015
	ds_read_b32 v160, v21 offset:17408                         // 0000000079EC: D86C4400 A0000015
	ds_read_b32 v161, v21 offset:17472                         // 0000000079F4: D86C4440 A1000015
	ds_read_b32 v164, v21 offset:19584                         // 0000000079FC: D86C4C80 A4000015
	ds_read_b32 v165, v21 offset:19648                         // 000000007A04: D86C4CC0 A5000015
	ds_read_b32 v168, v21 offset:21760                         // 000000007A0C: D86C5500 A8000015
	ds_read_b32 v169, v21 offset:21824                         // 000000007A14: D86C5540 A9000015
	ds_read_b32 v172, v21 offset:23936                         // 000000007A1C: D86C5D80 AC000015
	ds_read_b32 v173, v21 offset:24000                         // 000000007A24: D86C5DC0 AD000015
	ds_read_b32 v176, v21 offset:26112                         // 000000007A2C: D86C6600 B0000015
	ds_read_b32 v177, v21 offset:26176                         // 000000007A34: D86C6640 B1000015
	ds_read_b32 v180, v21 offset:28288                         // 000000007A3C: D86C6E80 B4000015
	ds_read_b32 v181, v21 offset:28352                         // 000000007A44: D86C6EC0 B5000015
	s_mul_i32 s60, s65, 4                                      // 000000007A4C: 923C8441
	s_add_u32 s8, s60, s8                                      // 000000007A50: 8008083C
	s_addc_u32 s9, 0, s9                                       // 000000007A54: 82090980
	s_waitcnt lgkmcnt(0)                                       // 000000007A58: BF8CC07F
	v_mov_b32_e32 v7, 0                                        // 000000007A5C: 7E0E0280
	s_mov_b64 exec, s[36:37]                                   // 000000007A60: BEFE0124
	v_mov_b32_e32 v6, v56                                      // 000000007A64: 7E0C0338
	s_mov_b64 s[60:61], 0                                      // 000000007A68: BEBC0180
	v_readlane_b32 s82, v3, 0                                  // 000000007A6C: D2890052 00010103
	s_and_b32 s82, s82, 0xffffff                               // 000000007A74: 8652FF52 00FFFFFF
	s_cmp_lt_u32 s82, s66                                      // 000000007A7C: BF0A4252
	s_cselect_b32 s20, s36, s60                                // 000000007A80: 85143C24
	v_readlane_b32 s82, v3, 1                                  // 000000007A84: D2890052 00010303
	s_and_b32 s82, s82, 0xffffff                               // 000000007A8C: 8652FF52 00FFFFFF
	s_cmp_lt_u32 s82, s66                                      // 000000007A94: BF0A4252
	s_cselect_b32 s21, s36, s60                                // 000000007A98: 85153C24
	s_mov_b64 exec, s[20:21]                                   // 000000007A9C: BEFE0114
	global_atomic_add_f32 v6, v128, s[8:9]                     // 000000007AA0: DD348000 00088006
	global_atomic_add_f32 v6, v132, s[8:9] offset:256          // 000000007AA8: DD348100 00088406
	s_mov_b64 exec, s[36:37]                                   // 000000007AB0: BEFE0124
	v_mov_b32_e32 v6, v57                                      // 000000007AB4: 7E0C0339
	s_mov_b64 s[60:61], 0                                      // 000000007AB8: BEBC0180
	v_readlane_b32 s82, v3, 2                                  // 000000007ABC: D2890052 00010503
	s_and_b32 s82, s82, 0xffffff                               // 000000007AC4: 8652FF52 00FFFFFF
	s_cmp_lt_u32 s82, s66                                      // 000000007ACC: BF0A4252
	s_cselect_b32 s20, s36, s60                                // 000000007AD0: 85143C24
	v_readlane_b32 s82, v3, 3                                  // 000000007AD4: D2890052 00010703
	s_and_b32 s82, s82, 0xffffff                               // 000000007ADC: 8652FF52 00FFFFFF
	s_cmp_lt_u32 s82, s66                                      // 000000007AE4: BF0A4252
	s_cselect_b32 s21, s36, s60                                // 000000007AE8: 85153C24
	s_mov_b64 exec, s[20:21]                                   // 000000007AEC: BEFE0114
	global_atomic_add_f32 v6, v129, s[8:9]                     // 000000007AF0: DD348000 00088106
	global_atomic_add_f32 v6, v133, s[8:9] offset:256          // 000000007AF8: DD348100 00088506
	s_mov_b64 exec, s[36:37]                                   // 000000007B00: BEFE0124
	v_mov_b32_e32 v6, v58                                      // 000000007B04: 7E0C033A
	s_mov_b64 s[60:61], 0                                      // 000000007B08: BEBC0180
	v_readlane_b32 s82, v3, 4                                  // 000000007B0C: D2890052 00010903
	s_and_b32 s82, s82, 0xffffff                               // 000000007B14: 8652FF52 00FFFFFF
	s_cmp_lt_u32 s82, s66                                      // 000000007B1C: BF0A4252
	s_cselect_b32 s20, s36, s60                                // 000000007B20: 85143C24
	v_readlane_b32 s82, v3, 5                                  // 000000007B24: D2890052 00010B03
	s_and_b32 s82, s82, 0xffffff                               // 000000007B2C: 8652FF52 00FFFFFF
	s_cmp_lt_u32 s82, s66                                      // 000000007B34: BF0A4252
	s_cselect_b32 s21, s36, s60                                // 000000007B38: 85153C24
	s_mov_b64 exec, s[20:21]                                   // 000000007B3C: BEFE0114
	global_atomic_add_f32 v6, v136, s[8:9]                     // 000000007B40: DD348000 00088806
	global_atomic_add_f32 v6, v140, s[8:9] offset:256          // 000000007B48: DD348100 00088C06
	s_mov_b64 exec, s[36:37]                                   // 000000007B50: BEFE0124
	v_mov_b32_e32 v6, v59                                      // 000000007B54: 7E0C033B
	s_mov_b64 s[60:61], 0                                      // 000000007B58: BEBC0180
	v_readlane_b32 s82, v3, 6                                  // 000000007B5C: D2890052 00010D03
	s_and_b32 s82, s82, 0xffffff                               // 000000007B64: 8652FF52 00FFFFFF
	s_cmp_lt_u32 s82, s66                                      // 000000007B6C: BF0A4252
	s_cselect_b32 s20, s36, s60                                // 000000007B70: 85143C24
	v_readlane_b32 s82, v3, 7                                  // 000000007B74: D2890052 00010F03
	s_and_b32 s82, s82, 0xffffff                               // 000000007B7C: 8652FF52 00FFFFFF
	s_cmp_lt_u32 s82, s66                                      // 000000007B84: BF0A4252
	s_cselect_b32 s21, s36, s60                                // 000000007B88: 85153C24
	s_mov_b64 exec, s[20:21]                                   // 000000007B8C: BEFE0114
	global_atomic_add_f32 v6, v137, s[8:9]                     // 000000007B90: DD348000 00088906
	global_atomic_add_f32 v6, v141, s[8:9] offset:256          // 000000007B98: DD348100 00088D06
	s_mov_b64 exec, s[36:37]                                   // 000000007BA0: BEFE0124
	v_mov_b32_e32 v6, v60                                      // 000000007BA4: 7E0C033C
	s_mov_b64 s[60:61], 0                                      // 000000007BA8: BEBC0180
	v_readlane_b32 s82, v3, 8                                  // 000000007BAC: D2890052 00011103
	s_and_b32 s82, s82, 0xffffff                               // 000000007BB4: 8652FF52 00FFFFFF
	s_cmp_lt_u32 s82, s66                                      // 000000007BBC: BF0A4252
	s_cselect_b32 s20, s36, s60                                // 000000007BC0: 85143C24
	v_readlane_b32 s82, v3, 9                                  // 000000007BC4: D2890052 00011303
	s_and_b32 s82, s82, 0xffffff                               // 000000007BCC: 8652FF52 00FFFFFF
	s_cmp_lt_u32 s82, s66                                      // 000000007BD4: BF0A4252
	s_cselect_b32 s21, s36, s60                                // 000000007BD8: 85153C24
	s_mov_b64 exec, s[20:21]                                   // 000000007BDC: BEFE0114
	global_atomic_add_f32 v6, v144, s[8:9]                     // 000000007BE0: DD348000 00089006
	global_atomic_add_f32 v6, v148, s[8:9] offset:256          // 000000007BE8: DD348100 00089406
	s_mov_b64 exec, s[36:37]                                   // 000000007BF0: BEFE0124
	v_mov_b32_e32 v6, v61                                      // 000000007BF4: 7E0C033D
	s_mov_b64 s[60:61], 0                                      // 000000007BF8: BEBC0180
	v_readlane_b32 s82, v3, 10                                 // 000000007BFC: D2890052 00011503
	s_and_b32 s82, s82, 0xffffff                               // 000000007C04: 8652FF52 00FFFFFF
	s_cmp_lt_u32 s82, s66                                      // 000000007C0C: BF0A4252
	s_cselect_b32 s20, s36, s60                                // 000000007C10: 85143C24
	v_readlane_b32 s82, v3, 11                                 // 000000007C14: D2890052 00011703
	s_and_b32 s82, s82, 0xffffff                               // 000000007C1C: 8652FF52 00FFFFFF
	s_cmp_lt_u32 s82, s66                                      // 000000007C24: BF0A4252
	s_cselect_b32 s21, s36, s60                                // 000000007C28: 85153C24
	s_mov_b64 exec, s[20:21]                                   // 000000007C2C: BEFE0114
	global_atomic_add_f32 v6, v145, s[8:9]                     // 000000007C30: DD348000 00089106
	global_atomic_add_f32 v6, v149, s[8:9] offset:256          // 000000007C38: DD348100 00089506
	s_mov_b64 exec, s[36:37]                                   // 000000007C40: BEFE0124
	v_mov_b32_e32 v6, v62                                      // 000000007C44: 7E0C033E
	s_mov_b64 s[60:61], 0                                      // 000000007C48: BEBC0180
	v_readlane_b32 s82, v3, 12                                 // 000000007C4C: D2890052 00011903
	s_and_b32 s82, s82, 0xffffff                               // 000000007C54: 8652FF52 00FFFFFF
	s_cmp_lt_u32 s82, s66                                      // 000000007C5C: BF0A4252
	s_cselect_b32 s20, s36, s60                                // 000000007C60: 85143C24
	v_readlane_b32 s82, v3, 13                                 // 000000007C64: D2890052 00011B03
	s_and_b32 s82, s82, 0xffffff                               // 000000007C6C: 8652FF52 00FFFFFF
	s_cmp_lt_u32 s82, s66                                      // 000000007C74: BF0A4252
	s_cselect_b32 s21, s36, s60                                // 000000007C78: 85153C24
	s_mov_b64 exec, s[20:21]                                   // 000000007C7C: BEFE0114
	global_atomic_add_f32 v6, v152, s[8:9]                     // 000000007C80: DD348000 00089806
	global_atomic_add_f32 v6, v156, s[8:9] offset:256          // 000000007C88: DD348100 00089C06
	s_mov_b64 exec, s[36:37]                                   // 000000007C90: BEFE0124
	v_mov_b32_e32 v6, v63                                      // 000000007C94: 7E0C033F
	s_mov_b64 s[60:61], 0                                      // 000000007C98: BEBC0180
	v_readlane_b32 s82, v3, 14                                 // 000000007C9C: D2890052 00011D03
	s_and_b32 s82, s82, 0xffffff                               // 000000007CA4: 8652FF52 00FFFFFF
	s_cmp_lt_u32 s82, s66                                      // 000000007CAC: BF0A4252
	s_cselect_b32 s20, s36, s60                                // 000000007CB0: 85143C24
	v_readlane_b32 s82, v3, 15                                 // 000000007CB4: D2890052 00011F03
	s_and_b32 s82, s82, 0xffffff                               // 000000007CBC: 8652FF52 00FFFFFF
	s_cmp_lt_u32 s82, s66                                      // 000000007CC4: BF0A4252
	s_cselect_b32 s21, s36, s60                                // 000000007CC8: 85153C24
	s_mov_b64 exec, s[20:21]                                   // 000000007CCC: BEFE0114
	global_atomic_add_f32 v6, v153, s[8:9]                     // 000000007CD0: DD348000 00089906
	global_atomic_add_f32 v6, v157, s[8:9] offset:256          // 000000007CD8: DD348100 00089D06
	s_mov_b64 exec, s[36:37]                                   // 000000007CE0: BEFE0124
	v_mov_b32_e32 v6, v64                                      // 000000007CE4: 7E0C0340
	s_mov_b64 s[60:61], 0                                      // 000000007CE8: BEBC0180
	v_readlane_b32 s82, v3, 16                                 // 000000007CEC: D2890052 00012103
	s_and_b32 s82, s82, 0xffffff                               // 000000007CF4: 8652FF52 00FFFFFF
	s_cmp_lt_u32 s82, s66                                      // 000000007CFC: BF0A4252
	s_cselect_b32 s20, s36, s60                                // 000000007D00: 85143C24
	v_readlane_b32 s82, v3, 17                                 // 000000007D04: D2890052 00012303
	s_and_b32 s82, s82, 0xffffff                               // 000000007D0C: 8652FF52 00FFFFFF
	s_cmp_lt_u32 s82, s66                                      // 000000007D14: BF0A4252
	s_cselect_b32 s21, s36, s60                                // 000000007D18: 85153C24
	s_mov_b64 exec, s[20:21]                                   // 000000007D1C: BEFE0114
	global_atomic_add_f32 v6, v160, s[8:9]                     // 000000007D20: DD348000 0008A006
	global_atomic_add_f32 v6, v164, s[8:9] offset:256          // 000000007D28: DD348100 0008A406
	s_mov_b64 exec, s[36:37]                                   // 000000007D30: BEFE0124
	v_mov_b32_e32 v6, v65                                      // 000000007D34: 7E0C0341
	s_mov_b64 s[60:61], 0                                      // 000000007D38: BEBC0180
	v_readlane_b32 s82, v3, 18                                 // 000000007D3C: D2890052 00012503
	s_and_b32 s82, s82, 0xffffff                               // 000000007D44: 8652FF52 00FFFFFF
	s_cmp_lt_u32 s82, s66                                      // 000000007D4C: BF0A4252
	s_cselect_b32 s20, s36, s60                                // 000000007D50: 85143C24
	v_readlane_b32 s82, v3, 19                                 // 000000007D54: D2890052 00012703
	s_and_b32 s82, s82, 0xffffff                               // 000000007D5C: 8652FF52 00FFFFFF
	s_cmp_lt_u32 s82, s66                                      // 000000007D64: BF0A4252
	s_cselect_b32 s21, s36, s60                                // 000000007D68: 85153C24
	s_mov_b64 exec, s[20:21]                                   // 000000007D6C: BEFE0114
	global_atomic_add_f32 v6, v161, s[8:9]                     // 000000007D70: DD348000 0008A106
	global_atomic_add_f32 v6, v165, s[8:9] offset:256          // 000000007D78: DD348100 0008A506
	s_mov_b64 exec, s[36:37]                                   // 000000007D80: BEFE0124
	v_mov_b32_e32 v6, v66                                      // 000000007D84: 7E0C0342
	s_mov_b64 s[60:61], 0                                      // 000000007D88: BEBC0180
	v_readlane_b32 s82, v3, 20                                 // 000000007D8C: D2890052 00012903
	s_and_b32 s82, s82, 0xffffff                               // 000000007D94: 8652FF52 00FFFFFF
	s_cmp_lt_u32 s82, s66                                      // 000000007D9C: BF0A4252
	s_cselect_b32 s20, s36, s60                                // 000000007DA0: 85143C24
	v_readlane_b32 s82, v3, 21                                 // 000000007DA4: D2890052 00012B03
	s_and_b32 s82, s82, 0xffffff                               // 000000007DAC: 8652FF52 00FFFFFF
	s_cmp_lt_u32 s82, s66                                      // 000000007DB4: BF0A4252
	s_cselect_b32 s21, s36, s60                                // 000000007DB8: 85153C24
	s_mov_b64 exec, s[20:21]                                   // 000000007DBC: BEFE0114
	global_atomic_add_f32 v6, v168, s[8:9]                     // 000000007DC0: DD348000 0008A806
	global_atomic_add_f32 v6, v172, s[8:9] offset:256          // 000000007DC8: DD348100 0008AC06
	s_mov_b64 exec, s[36:37]                                   // 000000007DD0: BEFE0124
	v_mov_b32_e32 v6, v67                                      // 000000007DD4: 7E0C0343
	s_mov_b64 s[60:61], 0                                      // 000000007DD8: BEBC0180
	v_readlane_b32 s82, v3, 22                                 // 000000007DDC: D2890052 00012D03
	s_and_b32 s82, s82, 0xffffff                               // 000000007DE4: 8652FF52 00FFFFFF
	s_cmp_lt_u32 s82, s66                                      // 000000007DEC: BF0A4252
	s_cselect_b32 s20, s36, s60                                // 000000007DF0: 85143C24
	v_readlane_b32 s82, v3, 23                                 // 000000007DF4: D2890052 00012F03
	s_and_b32 s82, s82, 0xffffff                               // 000000007DFC: 8652FF52 00FFFFFF
	s_cmp_lt_u32 s82, s66                                      // 000000007E04: BF0A4252
	s_cselect_b32 s21, s36, s60                                // 000000007E08: 85153C24
	s_mov_b64 exec, s[20:21]                                   // 000000007E0C: BEFE0114
	global_atomic_add_f32 v6, v169, s[8:9]                     // 000000007E10: DD348000 0008A906
	global_atomic_add_f32 v6, v173, s[8:9] offset:256          // 000000007E18: DD348100 0008AD06
	s_mov_b64 exec, s[36:37]                                   // 000000007E20: BEFE0124
	v_mov_b32_e32 v6, v68                                      // 000000007E24: 7E0C0344
	s_mov_b64 s[60:61], 0                                      // 000000007E28: BEBC0180
	v_readlane_b32 s82, v3, 24                                 // 000000007E2C: D2890052 00013103
	s_and_b32 s82, s82, 0xffffff                               // 000000007E34: 8652FF52 00FFFFFF
	s_cmp_lt_u32 s82, s66                                      // 000000007E3C: BF0A4252
	s_cselect_b32 s20, s36, s60                                // 000000007E40: 85143C24
	v_readlane_b32 s82, v3, 25                                 // 000000007E44: D2890052 00013303
	s_and_b32 s82, s82, 0xffffff                               // 000000007E4C: 8652FF52 00FFFFFF
	s_cmp_lt_u32 s82, s66                                      // 000000007E54: BF0A4252
	s_cselect_b32 s21, s36, s60                                // 000000007E58: 85153C24
	s_mov_b64 exec, s[20:21]                                   // 000000007E5C: BEFE0114
	global_atomic_add_f32 v6, v176, s[8:9]                     // 000000007E60: DD348000 0008B006
	global_atomic_add_f32 v6, v180, s[8:9] offset:256          // 000000007E68: DD348100 0008B406
	s_mov_b64 exec, s[36:37]                                   // 000000007E70: BEFE0124
	v_mov_b32_e32 v6, v69                                      // 000000007E74: 7E0C0345
	s_mov_b64 s[60:61], 0                                      // 000000007E78: BEBC0180
	v_readlane_b32 s82, v3, 26                                 // 000000007E7C: D2890052 00013503
	s_and_b32 s82, s82, 0xffffff                               // 000000007E84: 8652FF52 00FFFFFF
	s_cmp_lt_u32 s82, s66                                      // 000000007E8C: BF0A4252
	s_cselect_b32 s20, s36, s60                                // 000000007E90: 85143C24
	v_readlane_b32 s82, v3, 27                                 // 000000007E94: D2890052 00013703
	s_and_b32 s82, s82, 0xffffff                               // 000000007E9C: 8652FF52 00FFFFFF
	s_cmp_lt_u32 s82, s66                                      // 000000007EA4: BF0A4252
	s_cselect_b32 s21, s36, s60                                // 000000007EA8: 85153C24
	s_mov_b64 exec, s[20:21]                                   // 000000007EAC: BEFE0114
	global_atomic_add_f32 v6, v177, s[8:9]                     // 000000007EB0: DD348000 0008B106
	global_atomic_add_f32 v6, v181, s[8:9] offset:256          // 000000007EB8: DD348100 0008B506
	s_mov_b64 exec, s[36:37]                                   // 000000007EC0: BEFE0124
	ds_write_b64 v20, v[130:131]                               // 000000007EC4: D89A0000 00008214
	ds_write_b64 v20, v[134:135] offset:4352                   // 000000007ECC: D89A1100 00008614
	ds_write_b64 v20, v[138:139] offset:8704                   // 000000007ED4: D89A2200 00008A14
	ds_write_b64 v20, v[142:143] offset:13056                  // 000000007EDC: D89A3300 00008E14
	ds_write_b64 v20, v[146:147] offset:17408                  // 000000007EE4: D89A4400 00009214
	ds_write_b64 v20, v[150:151] offset:21760                  // 000000007EEC: D89A5500 00009614
	ds_write_b64 v20, v[154:155] offset:26112                  // 000000007EF4: D89A6600 00009A14
	ds_write_b64 v20, v[158:159] offset:2176                   // 000000007EFC: D89A0880 00009E14
	ds_write_b64 v20, v[162:163] offset:6528                   // 000000007F04: D89A1980 0000A214
	ds_write_b64 v20, v[166:167] offset:10880                  // 000000007F0C: D89A2A80 0000A614
	ds_write_b64 v20, v[170:171] offset:15232                  // 000000007F14: D89A3B80 0000AA14
	ds_write_b64 v20, v[174:175] offset:19584                  // 000000007F1C: D89A4C80 0000AE14
	ds_write_b64 v20, v[178:179] offset:23936                  // 000000007F24: D89A5D80 0000B214
	ds_write_b64 v20, v[182:183] offset:28288                  // 000000007F2C: D89A6E80 0000B614
	s_waitcnt lgkmcnt(0)                                       // 000000007F34: BF8CC07F
	s_barrier                                                  // 000000007F38: BF8A0000
	ds_read_b32 v130, v21                                      // 000000007F3C: D86C0000 82000015
	ds_read_b32 v131, v21 offset:64                            // 000000007F44: D86C0040 83000015
	ds_read_b32 v134, v21 offset:2176                          // 000000007F4C: D86C0880 86000015
	ds_read_b32 v135, v21 offset:2240                          // 000000007F54: D86C08C0 87000015
	ds_read_b32 v138, v21 offset:4352                          // 000000007F5C: D86C1100 8A000015
	ds_read_b32 v139, v21 offset:4416                          // 000000007F64: D86C1140 8B000015
	ds_read_b32 v142, v21 offset:6528                          // 000000007F6C: D86C1980 8E000015
	ds_read_b32 v143, v21 offset:6592                          // 000000007F74: D86C19C0 8F000015
	ds_read_b32 v146, v21 offset:8704                          // 000000007F7C: D86C2200 92000015
	ds_read_b32 v147, v21 offset:8768                          // 000000007F84: D86C2240 93000015
	ds_read_b32 v150, v21 offset:10880                         // 000000007F8C: D86C2A80 96000015
	ds_read_b32 v151, v21 offset:10944                         // 000000007F94: D86C2AC0 97000015
	ds_read_b32 v154, v21 offset:13056                         // 000000007F9C: D86C3300 9A000015
	ds_read_b32 v155, v21 offset:13120                         // 000000007FA4: D86C3340 9B000015
	ds_read_b32 v158, v21 offset:15232                         // 000000007FAC: D86C3B80 9E000015
	ds_read_b32 v159, v21 offset:15296                         // 000000007FB4: D86C3BC0 9F000015
	ds_read_b32 v162, v21 offset:17408                         // 000000007FBC: D86C4400 A2000015
	ds_read_b32 v163, v21 offset:17472                         // 000000007FC4: D86C4440 A3000015
	ds_read_b32 v166, v21 offset:19584                         // 000000007FCC: D86C4C80 A6000015
	ds_read_b32 v167, v21 offset:19648                         // 000000007FD4: D86C4CC0 A7000015
	ds_read_b32 v170, v21 offset:21760                         // 000000007FDC: D86C5500 AA000015
	ds_read_b32 v171, v21 offset:21824                         // 000000007FE4: D86C5540 AB000015
	ds_read_b32 v174, v21 offset:23936                         // 000000007FEC: D86C5D80 AE000015
	ds_read_b32 v175, v21 offset:24000                         // 000000007FF4: D86C5DC0 AF000015
	ds_read_b32 v178, v21 offset:26112                         // 000000007FFC: D86C6600 B2000015
	ds_read_b32 v179, v21 offset:26176                         // 000000008004: D86C6640 B3000015
	ds_read_b32 v182, v21 offset:28288                         // 00000000800C: D86C6E80 B6000015
	ds_read_b32 v183, v21 offset:28352                         // 000000008014: D86C6EC0 B7000015
	s_waitcnt lgkmcnt(0)                                       // 00000000801C: BF8CC07F
	v_mov_b32_e32 v7, 0                                        // 000000008020: 7E0E0280
	s_mov_b64 exec, s[36:37]                                   // 000000008024: BEFE0124
	v_mov_b32_e32 v6, v56                                      // 000000008028: 7E0C0338
	s_mov_b64 s[60:61], 0                                      // 00000000802C: BEBC0180
	v_readlane_b32 s82, v3, 0                                  // 000000008030: D2890052 00010103
	s_and_b32 s82, s82, 0xffffff                               // 000000008038: 8652FF52 00FFFFFF
	s_cmp_lt_u32 s82, s66                                      // 000000008040: BF0A4252
	s_cselect_b32 s20, s36, s60                                // 000000008044: 85143C24
	v_readlane_b32 s82, v3, 1                                  // 000000008048: D2890052 00010303
	s_and_b32 s82, s82, 0xffffff                               // 000000008050: 8652FF52 00FFFFFF
	s_cmp_lt_u32 s82, s66                                      // 000000008058: BF0A4252
	s_cselect_b32 s21, s36, s60                                // 00000000805C: 85153C24
	s_mov_b64 exec, s[20:21]                                   // 000000008060: BEFE0114
	global_atomic_add_f32 v6, v130, s[8:9] offset:8            // 000000008064: DD348008 00088206
	global_atomic_add_f32 v6, v134, s[8:9] offset:264          // 00000000806C: DD348108 00088606
	s_mov_b64 exec, s[36:37]                                   // 000000008074: BEFE0124
	v_mov_b32_e32 v6, v57                                      // 000000008078: 7E0C0339
	s_mov_b64 s[60:61], 0                                      // 00000000807C: BEBC0180
	v_readlane_b32 s82, v3, 2                                  // 000000008080: D2890052 00010503
	s_and_b32 s82, s82, 0xffffff                               // 000000008088: 8652FF52 00FFFFFF
	s_cmp_lt_u32 s82, s66                                      // 000000008090: BF0A4252
	s_cselect_b32 s20, s36, s60                                // 000000008094: 85143C24
	v_readlane_b32 s82, v3, 3                                  // 000000008098: D2890052 00010703
	s_and_b32 s82, s82, 0xffffff                               // 0000000080A0: 8652FF52 00FFFFFF
	s_cmp_lt_u32 s82, s66                                      // 0000000080A8: BF0A4252
	s_cselect_b32 s21, s36, s60                                // 0000000080AC: 85153C24
	s_mov_b64 exec, s[20:21]                                   // 0000000080B0: BEFE0114
	global_atomic_add_f32 v6, v131, s[8:9] offset:8            // 0000000080B4: DD348008 00088306
	global_atomic_add_f32 v6, v135, s[8:9] offset:264          // 0000000080BC: DD348108 00088706
	s_mov_b64 exec, s[36:37]                                   // 0000000080C4: BEFE0124
	v_mov_b32_e32 v6, v58                                      // 0000000080C8: 7E0C033A
	s_mov_b64 s[60:61], 0                                      // 0000000080CC: BEBC0180
	v_readlane_b32 s82, v3, 4                                  // 0000000080D0: D2890052 00010903
	s_and_b32 s82, s82, 0xffffff                               // 0000000080D8: 8652FF52 00FFFFFF
	s_cmp_lt_u32 s82, s66                                      // 0000000080E0: BF0A4252
	s_cselect_b32 s20, s36, s60                                // 0000000080E4: 85143C24
	v_readlane_b32 s82, v3, 5                                  // 0000000080E8: D2890052 00010B03
	s_and_b32 s82, s82, 0xffffff                               // 0000000080F0: 8652FF52 00FFFFFF
	s_cmp_lt_u32 s82, s66                                      // 0000000080F8: BF0A4252
	s_cselect_b32 s21, s36, s60                                // 0000000080FC: 85153C24
	s_mov_b64 exec, s[20:21]                                   // 000000008100: BEFE0114
	global_atomic_add_f32 v6, v138, s[8:9] offset:8            // 000000008104: DD348008 00088A06
	global_atomic_add_f32 v6, v142, s[8:9] offset:264          // 00000000810C: DD348108 00088E06
	s_mov_b64 exec, s[36:37]                                   // 000000008114: BEFE0124
	v_mov_b32_e32 v6, v59                                      // 000000008118: 7E0C033B
	s_mov_b64 s[60:61], 0                                      // 00000000811C: BEBC0180
	v_readlane_b32 s82, v3, 6                                  // 000000008120: D2890052 00010D03
	s_and_b32 s82, s82, 0xffffff                               // 000000008128: 8652FF52 00FFFFFF
	s_cmp_lt_u32 s82, s66                                      // 000000008130: BF0A4252
	s_cselect_b32 s20, s36, s60                                // 000000008134: 85143C24
	v_readlane_b32 s82, v3, 7                                  // 000000008138: D2890052 00010F03
	s_and_b32 s82, s82, 0xffffff                               // 000000008140: 8652FF52 00FFFFFF
	s_cmp_lt_u32 s82, s66                                      // 000000008148: BF0A4252
	s_cselect_b32 s21, s36, s60                                // 00000000814C: 85153C24
	s_mov_b64 exec, s[20:21]                                   // 000000008150: BEFE0114
	global_atomic_add_f32 v6, v139, s[8:9] offset:8            // 000000008154: DD348008 00088B06
	global_atomic_add_f32 v6, v143, s[8:9] offset:264          // 00000000815C: DD348108 00088F06
	s_mov_b64 exec, s[36:37]                                   // 000000008164: BEFE0124
	v_mov_b32_e32 v6, v60                                      // 000000008168: 7E0C033C
	s_mov_b64 s[60:61], 0                                      // 00000000816C: BEBC0180
	v_readlane_b32 s82, v3, 8                                  // 000000008170: D2890052 00011103
	s_and_b32 s82, s82, 0xffffff                               // 000000008178: 8652FF52 00FFFFFF
	s_cmp_lt_u32 s82, s66                                      // 000000008180: BF0A4252
	s_cselect_b32 s20, s36, s60                                // 000000008184: 85143C24
	v_readlane_b32 s82, v3, 9                                  // 000000008188: D2890052 00011303
	s_and_b32 s82, s82, 0xffffff                               // 000000008190: 8652FF52 00FFFFFF
	s_cmp_lt_u32 s82, s66                                      // 000000008198: BF0A4252
	s_cselect_b32 s21, s36, s60                                // 00000000819C: 85153C24
	s_mov_b64 exec, s[20:21]                                   // 0000000081A0: BEFE0114
	global_atomic_add_f32 v6, v146, s[8:9] offset:8            // 0000000081A4: DD348008 00089206
	global_atomic_add_f32 v6, v150, s[8:9] offset:264          // 0000000081AC: DD348108 00089606
	s_mov_b64 exec, s[36:37]                                   // 0000000081B4: BEFE0124
	v_mov_b32_e32 v6, v61                                      // 0000000081B8: 7E0C033D
	s_mov_b64 s[60:61], 0                                      // 0000000081BC: BEBC0180
	v_readlane_b32 s82, v3, 10                                 // 0000000081C0: D2890052 00011503
	s_and_b32 s82, s82, 0xffffff                               // 0000000081C8: 8652FF52 00FFFFFF
	s_cmp_lt_u32 s82, s66                                      // 0000000081D0: BF0A4252
	s_cselect_b32 s20, s36, s60                                // 0000000081D4: 85143C24
	v_readlane_b32 s82, v3, 11                                 // 0000000081D8: D2890052 00011703
	s_and_b32 s82, s82, 0xffffff                               // 0000000081E0: 8652FF52 00FFFFFF
	s_cmp_lt_u32 s82, s66                                      // 0000000081E8: BF0A4252
	s_cselect_b32 s21, s36, s60                                // 0000000081EC: 85153C24
	s_mov_b64 exec, s[20:21]                                   // 0000000081F0: BEFE0114
	global_atomic_add_f32 v6, v147, s[8:9] offset:8            // 0000000081F4: DD348008 00089306
	global_atomic_add_f32 v6, v151, s[8:9] offset:264          // 0000000081FC: DD348108 00089706
	s_mov_b64 exec, s[36:37]                                   // 000000008204: BEFE0124
	v_mov_b32_e32 v6, v62                                      // 000000008208: 7E0C033E
	s_mov_b64 s[60:61], 0                                      // 00000000820C: BEBC0180
	v_readlane_b32 s82, v3, 12                                 // 000000008210: D2890052 00011903
	s_and_b32 s82, s82, 0xffffff                               // 000000008218: 8652FF52 00FFFFFF
	s_cmp_lt_u32 s82, s66                                      // 000000008220: BF0A4252
	s_cselect_b32 s20, s36, s60                                // 000000008224: 85143C24
	v_readlane_b32 s82, v3, 13                                 // 000000008228: D2890052 00011B03
	s_and_b32 s82, s82, 0xffffff                               // 000000008230: 8652FF52 00FFFFFF
	s_cmp_lt_u32 s82, s66                                      // 000000008238: BF0A4252
	s_cselect_b32 s21, s36, s60                                // 00000000823C: 85153C24
	s_mov_b64 exec, s[20:21]                                   // 000000008240: BEFE0114
	global_atomic_add_f32 v6, v154, s[8:9] offset:8            // 000000008244: DD348008 00089A06
	global_atomic_add_f32 v6, v158, s[8:9] offset:264          // 00000000824C: DD348108 00089E06
	s_mov_b64 exec, s[36:37]                                   // 000000008254: BEFE0124
	v_mov_b32_e32 v6, v63                                      // 000000008258: 7E0C033F
	s_mov_b64 s[60:61], 0                                      // 00000000825C: BEBC0180
	v_readlane_b32 s82, v3, 14                                 // 000000008260: D2890052 00011D03
	s_and_b32 s82, s82, 0xffffff                               // 000000008268: 8652FF52 00FFFFFF
	s_cmp_lt_u32 s82, s66                                      // 000000008270: BF0A4252
	s_cselect_b32 s20, s36, s60                                // 000000008274: 85143C24
	v_readlane_b32 s82, v3, 15                                 // 000000008278: D2890052 00011F03
	s_and_b32 s82, s82, 0xffffff                               // 000000008280: 8652FF52 00FFFFFF
	s_cmp_lt_u32 s82, s66                                      // 000000008288: BF0A4252
	s_cselect_b32 s21, s36, s60                                // 00000000828C: 85153C24
	s_mov_b64 exec, s[20:21]                                   // 000000008290: BEFE0114
	global_atomic_add_f32 v6, v155, s[8:9] offset:8            // 000000008294: DD348008 00089B06
	global_atomic_add_f32 v6, v159, s[8:9] offset:264          // 00000000829C: DD348108 00089F06
	s_mov_b64 exec, s[36:37]                                   // 0000000082A4: BEFE0124
	v_mov_b32_e32 v6, v64                                      // 0000000082A8: 7E0C0340
	s_mov_b64 s[60:61], 0                                      // 0000000082AC: BEBC0180
	v_readlane_b32 s82, v3, 16                                 // 0000000082B0: D2890052 00012103
	s_and_b32 s82, s82, 0xffffff                               // 0000000082B8: 8652FF52 00FFFFFF
	s_cmp_lt_u32 s82, s66                                      // 0000000082C0: BF0A4252
	s_cselect_b32 s20, s36, s60                                // 0000000082C4: 85143C24
	v_readlane_b32 s82, v3, 17                                 // 0000000082C8: D2890052 00012303
	s_and_b32 s82, s82, 0xffffff                               // 0000000082D0: 8652FF52 00FFFFFF
	s_cmp_lt_u32 s82, s66                                      // 0000000082D8: BF0A4252
	s_cselect_b32 s21, s36, s60                                // 0000000082DC: 85153C24
	s_mov_b64 exec, s[20:21]                                   // 0000000082E0: BEFE0114
	global_atomic_add_f32 v6, v162, s[8:9] offset:8            // 0000000082E4: DD348008 0008A206
	global_atomic_add_f32 v6, v166, s[8:9] offset:264          // 0000000082EC: DD348108 0008A606
	s_mov_b64 exec, s[36:37]                                   // 0000000082F4: BEFE0124
	v_mov_b32_e32 v6, v65                                      // 0000000082F8: 7E0C0341
	s_mov_b64 s[60:61], 0                                      // 0000000082FC: BEBC0180
	v_readlane_b32 s82, v3, 18                                 // 000000008300: D2890052 00012503
	s_and_b32 s82, s82, 0xffffff                               // 000000008308: 8652FF52 00FFFFFF
	s_cmp_lt_u32 s82, s66                                      // 000000008310: BF0A4252
	s_cselect_b32 s20, s36, s60                                // 000000008314: 85143C24
	v_readlane_b32 s82, v3, 19                                 // 000000008318: D2890052 00012703
	s_and_b32 s82, s82, 0xffffff                               // 000000008320: 8652FF52 00FFFFFF
	s_cmp_lt_u32 s82, s66                                      // 000000008328: BF0A4252
	s_cselect_b32 s21, s36, s60                                // 00000000832C: 85153C24
	s_mov_b64 exec, s[20:21]                                   // 000000008330: BEFE0114
	global_atomic_add_f32 v6, v163, s[8:9] offset:8            // 000000008334: DD348008 0008A306
	global_atomic_add_f32 v6, v167, s[8:9] offset:264          // 00000000833C: DD348108 0008A706
	s_mov_b64 exec, s[36:37]                                   // 000000008344: BEFE0124
	v_mov_b32_e32 v6, v66                                      // 000000008348: 7E0C0342
	s_mov_b64 s[60:61], 0                                      // 00000000834C: BEBC0180
	v_readlane_b32 s82, v3, 20                                 // 000000008350: D2890052 00012903
	s_and_b32 s82, s82, 0xffffff                               // 000000008358: 8652FF52 00FFFFFF
	s_cmp_lt_u32 s82, s66                                      // 000000008360: BF0A4252
	s_cselect_b32 s20, s36, s60                                // 000000008364: 85143C24
	v_readlane_b32 s82, v3, 21                                 // 000000008368: D2890052 00012B03
	s_and_b32 s82, s82, 0xffffff                               // 000000008370: 8652FF52 00FFFFFF
	s_cmp_lt_u32 s82, s66                                      // 000000008378: BF0A4252
	s_cselect_b32 s21, s36, s60                                // 00000000837C: 85153C24
	s_mov_b64 exec, s[20:21]                                   // 000000008380: BEFE0114
	global_atomic_add_f32 v6, v170, s[8:9] offset:8            // 000000008384: DD348008 0008AA06
	global_atomic_add_f32 v6, v174, s[8:9] offset:264          // 00000000838C: DD348108 0008AE06
	s_mov_b64 exec, s[36:37]                                   // 000000008394: BEFE0124
	v_mov_b32_e32 v6, v67                                      // 000000008398: 7E0C0343
	s_mov_b64 s[60:61], 0                                      // 00000000839C: BEBC0180
	v_readlane_b32 s82, v3, 22                                 // 0000000083A0: D2890052 00012D03
	s_and_b32 s82, s82, 0xffffff                               // 0000000083A8: 8652FF52 00FFFFFF
	s_cmp_lt_u32 s82, s66                                      // 0000000083B0: BF0A4252
	s_cselect_b32 s20, s36, s60                                // 0000000083B4: 85143C24
	v_readlane_b32 s82, v3, 23                                 // 0000000083B8: D2890052 00012F03
	s_and_b32 s82, s82, 0xffffff                               // 0000000083C0: 8652FF52 00FFFFFF
	s_cmp_lt_u32 s82, s66                                      // 0000000083C8: BF0A4252
	s_cselect_b32 s21, s36, s60                                // 0000000083CC: 85153C24
	s_mov_b64 exec, s[20:21]                                   // 0000000083D0: BEFE0114
	global_atomic_add_f32 v6, v171, s[8:9] offset:8            // 0000000083D4: DD348008 0008AB06
	global_atomic_add_f32 v6, v175, s[8:9] offset:264          // 0000000083DC: DD348108 0008AF06
	s_mov_b64 exec, s[36:37]                                   // 0000000083E4: BEFE0124
	v_mov_b32_e32 v6, v68                                      // 0000000083E8: 7E0C0344
	s_mov_b64 s[60:61], 0                                      // 0000000083EC: BEBC0180
	v_readlane_b32 s82, v3, 24                                 // 0000000083F0: D2890052 00013103
	s_and_b32 s82, s82, 0xffffff                               // 0000000083F8: 8652FF52 00FFFFFF
	s_cmp_lt_u32 s82, s66                                      // 000000008400: BF0A4252
	s_cselect_b32 s20, s36, s60                                // 000000008404: 85143C24
	v_readlane_b32 s82, v3, 25                                 // 000000008408: D2890052 00013303
	s_and_b32 s82, s82, 0xffffff                               // 000000008410: 8652FF52 00FFFFFF
	s_cmp_lt_u32 s82, s66                                      // 000000008418: BF0A4252
	s_cselect_b32 s21, s36, s60                                // 00000000841C: 85153C24
	s_mov_b64 exec, s[20:21]                                   // 000000008420: BEFE0114
	global_atomic_add_f32 v6, v178, s[8:9] offset:8            // 000000008424: DD348008 0008B206
	global_atomic_add_f32 v6, v182, s[8:9] offset:264          // 00000000842C: DD348108 0008B606
	s_mov_b64 exec, s[36:37]                                   // 000000008434: BEFE0124
	v_mov_b32_e32 v6, v69                                      // 000000008438: 7E0C0345
	s_mov_b64 s[60:61], 0                                      // 00000000843C: BEBC0180
	v_readlane_b32 s82, v3, 26                                 // 000000008440: D2890052 00013503
	s_and_b32 s82, s82, 0xffffff                               // 000000008448: 8652FF52 00FFFFFF
	s_cmp_lt_u32 s82, s66                                      // 000000008450: BF0A4252
	s_cselect_b32 s20, s36, s60                                // 000000008454: 85143C24
	v_readlane_b32 s82, v3, 27                                 // 000000008458: D2890052 00013703
	s_and_b32 s82, s82, 0xffffff                               // 000000008460: 8652FF52 00FFFFFF
	s_cmp_lt_u32 s82, s66                                      // 000000008468: BF0A4252
	s_cselect_b32 s21, s36, s60                                // 00000000846C: 85153C24
	s_mov_b64 exec, s[20:21]                                   // 000000008470: BEFE0114
	global_atomic_add_f32 v6, v179, s[8:9] offset:8            // 000000008474: DD348008 0008B306
	global_atomic_add_f32 v6, v183, s[8:9] offset:264          // 00000000847C: DD348108 0008B706
	s_mov_b64 exec, s[36:37]                                   // 000000008484: BEFE0124
	s_branch label_2A06                                        // 000000008488: BF821360

000000000000848c <label_16A6>:
	s_waitcnt vmcnt(2) lgkmcnt(0)                              // 00000000848C: BF8C0072
	s_barrier                                                  // 000000008490: BF8A0000
	v_mfma_f32_16x16x32_fp8_fp8 v[72:75], a[112:113], a[0:1], v[72:75]// 000000008494: D3F30048 1D220170
	buffer_load_dwordx4 a[128:131], v70, s[84:87], 0 offen     // 00000000849C: E05C1000 80958046
	v_mfma_f32_16x16x32_fp8_fp8 v[72:75], a[114:115], a[2:3], v[72:75]// 0000000084A4: D3F30048 1D220572
	v_mfma_f32_16x16x32_fp8_fp8 v[72:75], a[116:117], a[4:5], v[72:75]// 0000000084AC: D3F30048 1D220974
	v_mfma_f32_16x16x32_fp8_fp8 v[72:75], a[118:119], a[6:7], v[72:75]// 0000000084B4: D3F30048 1D220D76
	v_mfma_f32_16x16x32_fp8_fp8 v[76:79], a[112:113], a[8:9], v[76:79]// 0000000084BC: D3F3004C 1D321170
	buffer_load_dwordx4 a[132:135], v70, s[84:87], 0 offen offset:1024// 0000000084C4: E05C1400 80958446
	v_mfma_f32_16x16x32_fp8_fp8 v[76:79], a[114:115], a[10:11], v[76:79]// 0000000084CC: D3F3004C 1D321572
	v_mfma_f32_16x16x32_fp8_fp8 v[76:79], a[116:117], a[12:13], v[76:79]// 0000000084D4: D3F3004C 1D321974
	v_mfma_f32_16x16x32_fp8_fp8 v[76:79], a[118:119], a[14:15], v[76:79]// 0000000084DC: D3F3004C 1D321D76
	v_mfma_f32_16x16x32_fp8_fp8 v[80:83], a[112:113], a[16:17], v[80:83]// 0000000084E4: D3F30050 1D422170
	buffer_load_dwordx4 a[136:139], v71, s[84:87], 0 offen     // 0000000084EC: E05C1000 80958847
	v_mfma_f32_16x16x32_fp8_fp8 v[80:83], a[114:115], a[18:19], v[80:83]// 0000000084F4: D3F30050 1D422572
	v_mfma_f32_16x16x32_fp8_fp8 v[80:83], a[116:117], a[20:21], v[80:83]// 0000000084FC: D3F30050 1D422974
	v_mfma_f32_16x16x32_fp8_fp8 v[80:83], a[118:119], a[22:23], v[80:83]// 000000008504: D3F30050 1D422D76
	v_mfma_f32_16x16x32_fp8_fp8 v[84:87], a[112:113], a[24:25], v[84:87]// 00000000850C: D3F30054 1D523170
	buffer_load_dwordx4 a[140:143], v71, s[84:87], 0 offen offset:1024// 000000008514: E05C1400 80958C47
	buffer_load_dword v56, s[20:23], 0 offen lds               // 00000000851C: E0511000 80050038
	s_add_u32 m0, 0x100, s48                                   // 000000008524: 807C30FF 00000100
	v_mfma_f32_16x16x32_fp8_fp8 v[84:87], a[114:115], a[26:27], v[84:87]// 00000000852C: D3F30054 1D523572
	v_mfma_f32_16x16x32_fp8_fp8 v[84:87], a[116:117], a[28:29], v[84:87]// 000000008534: D3F30054 1D523974
	buffer_load_dword v57, s[20:23], 0 offen lds               // 00000000853C: E0511000 80050039
	s_add_u32 m0, 0x200, s48                                   // 000000008544: 807C30FF 00000200
	v_mfma_f32_16x16x32_fp8_fp8 v[84:87], a[118:119], a[30:31], v[84:87]// 00000000854C: D3F30054 1D523D76
	v_mfma_f32_16x16x32_fp8_fp8 v[88:91], a[112:113], a[32:33], v[88:91]// 000000008554: D3F30058 1D624170
	buffer_load_dword v58, s[20:23], 0 offen lds               // 00000000855C: E0511000 8005003A
	s_add_u32 m0, 0x300, s48                                   // 000000008564: 807C30FF 00000300
	v_mfma_f32_16x16x32_fp8_fp8 v[88:91], a[114:115], a[34:35], v[88:91]// 00000000856C: D3F30058 1D624572
	v_mfma_f32_16x16x32_fp8_fp8 v[88:91], a[116:117], a[36:37], v[88:91]// 000000008574: D3F30058 1D624974
	buffer_load_dword v59, s[20:23], 0 offen lds               // 00000000857C: E0511000 8005003B
	s_add_u32 m0, 0x400, s48                                   // 000000008584: 807C30FF 00000400
	v_mfma_f32_16x16x32_fp8_fp8 v[88:91], a[118:119], a[38:39], v[88:91]// 00000000858C: D3F30058 1D624D76
	v_mfma_f32_16x16x32_fp8_fp8 v[92:95], a[112:113], a[40:41], v[92:95]// 000000008594: D3F3005C 1D725170
	buffer_load_dword v60, s[20:23], 0 offen lds               // 00000000859C: E0511000 8005003C
	s_add_u32 m0, 0x500, s48                                   // 0000000085A4: 807C30FF 00000500
	v_mfma_f32_16x16x32_fp8_fp8 v[92:95], a[114:115], a[42:43], v[92:95]// 0000000085AC: D3F3005C 1D725572
	v_mfma_f32_16x16x32_fp8_fp8 v[92:95], a[116:117], a[44:45], v[92:95]// 0000000085B4: D3F3005C 1D725974
	buffer_load_dword v61, s[20:23], 0 offen lds               // 0000000085BC: E0511000 8005003D
	s_add_u32 m0, 0x600, s48                                   // 0000000085C4: 807C30FF 00000600
	v_mfma_f32_16x16x32_fp8_fp8 v[92:95], a[118:119], a[46:47], v[92:95]// 0000000085CC: D3F3005C 1D725D76
	v_mfma_f32_16x16x32_fp8_fp8 v[96:99], a[112:113], a[48:49], v[96:99]// 0000000085D4: D3F30060 1D826170
	buffer_load_dword v62, s[20:23], 0 offen lds               // 0000000085DC: E0511000 8005003E
	s_add_u32 m0, 0x700, s48                                   // 0000000085E4: 807C30FF 00000700
	v_mfma_f32_16x16x32_fp8_fp8 v[96:99], a[114:115], a[50:51], v[96:99]// 0000000085EC: D3F30060 1D826572
	v_mfma_f32_16x16x32_fp8_fp8 v[96:99], a[116:117], a[52:53], v[96:99]// 0000000085F4: D3F30060 1D826974
	buffer_load_dword v63, s[20:23], 0 offen lds               // 0000000085FC: E0511000 8005003F
	s_add_u32 m0, 0x800, s48                                   // 000000008604: 807C30FF 00000800
	v_mfma_f32_16x16x32_fp8_fp8 v[96:99], a[118:119], a[54:55], v[96:99]// 00000000860C: D3F30060 1D826D76
	s_waitcnt vmcnt(12)                                        // 000000008614: BF8C0F7C
	v_mfma_f32_16x16x32_fp8_fp8 v[100:103], a[120:121], a[0:1], v[100:103]// 000000008618: D3F30064 1D920178
	buffer_load_dword v64, s[20:23], 0 offen lds               // 000000008620: E0511000 80050040
	s_add_u32 m0, 0x900, s48                                   // 000000008628: 807C30FF 00000900
	v_mfma_f32_16x16x32_fp8_fp8 v[100:103], a[122:123], a[2:3], v[100:103]// 000000008630: D3F30064 1D92057A
	v_mfma_f32_16x16x32_fp8_fp8 v[100:103], a[124:125], a[4:5], v[100:103]// 000000008638: D3F30064 1D92097C
	buffer_load_dword v65, s[20:23], 0 offen lds               // 000000008640: E0511000 80050041
	s_add_u32 m0, 0xa00, s48                                   // 000000008648: 807C30FF 00000A00
	v_mfma_f32_16x16x32_fp8_fp8 v[100:103], a[126:127], a[6:7], v[100:103]// 000000008650: D3F30064 1D920D7E
	v_mfma_f32_16x16x32_fp8_fp8 v[104:107], a[120:121], a[8:9], v[104:107]// 000000008658: D3F30068 1DA21178
	buffer_load_dword v66, s[20:23], 0 offen lds               // 000000008660: E0511000 80050042
	s_add_u32 m0, 0xb00, s48                                   // 000000008668: 807C30FF 00000B00
	v_mfma_f32_16x16x32_fp8_fp8 v[104:107], a[122:123], a[10:11], v[104:107]// 000000008670: D3F30068 1DA2157A
	v_mfma_f32_16x16x32_fp8_fp8 v[104:107], a[124:125], a[12:13], v[104:107]// 000000008678: D3F30068 1DA2197C
	buffer_load_dword v67, s[20:23], 0 offen lds               // 000000008680: E0511000 80050043
	s_add_u32 m0, 0xc00, s48                                   // 000000008688: 807C30FF 00000C00
	v_mfma_f32_16x16x32_fp8_fp8 v[104:107], a[126:127], a[14:15], v[104:107]// 000000008690: D3F30068 1DA21D7E
	v_mfma_f32_16x16x32_fp8_fp8 v[108:111], a[120:121], a[16:17], v[108:111]// 000000008698: D3F3006C 1DB22178
	buffer_load_dword v68, s[20:23], 0 offen lds               // 0000000086A0: E0511000 80050044
	s_add_u32 m0, 0xd00, s48                                   // 0000000086A8: 807C30FF 00000D00
	v_mfma_f32_16x16x32_fp8_fp8 v[108:111], a[122:123], a[18:19], v[108:111]// 0000000086B0: D3F3006C 1DB2257A
	v_mfma_f32_16x16x32_fp8_fp8 v[108:111], a[124:125], a[20:21], v[108:111]// 0000000086B8: D3F3006C 1DB2297C
	buffer_load_dword v69, s[20:23], 0 offen lds               // 0000000086C0: E0511000 80050045
	s_add_u32 m0, 0, s49                                       // 0000000086C8: 807C3180
	v_mfma_f32_16x16x32_fp8_fp8 v[108:111], a[126:127], a[22:23], v[108:111]// 0000000086CC: D3F3006C 1DB22D7E
	v_mfma_f32_16x16x32_fp8_fp8 v[112:115], a[120:121], a[24:25], v[112:115]// 0000000086D4: D3F30070 1DC23178
	v_mfma_f32_16x16x32_fp8_fp8 v[112:115], a[122:123], a[26:27], v[112:115]// 0000000086DC: D3F30070 1DC2357A
	v_mfma_f32_16x16x32_fp8_fp8 v[112:115], a[124:125], a[28:29], v[112:115]// 0000000086E4: D3F30070 1DC2397C
	v_mfma_f32_16x16x32_fp8_fp8 v[112:115], a[126:127], a[30:31], v[112:115]// 0000000086EC: D3F30070 1DC23D7E
	v_mfma_f32_16x16x32_fp8_fp8 v[116:119], a[120:121], a[32:33], v[116:119]// 0000000086F4: D3F30074 1DD24178
	v_mfma_f32_16x16x32_fp8_fp8 v[116:119], a[122:123], a[34:35], v[116:119]// 0000000086FC: D3F30074 1DD2457A
	v_mfma_f32_16x16x32_fp8_fp8 v[116:119], a[124:125], a[36:37], v[116:119]// 000000008704: D3F30074 1DD2497C
	v_mfma_f32_16x16x32_fp8_fp8 v[116:119], a[126:127], a[38:39], v[116:119]// 00000000870C: D3F30074 1DD24D7E
	v_mfma_f32_16x16x32_fp8_fp8 v[120:123], a[120:121], a[40:41], v[120:123]// 000000008714: D3F30078 1DE25178
	v_mfma_f32_16x16x32_fp8_fp8 v[120:123], a[122:123], a[42:43], v[120:123]// 00000000871C: D3F30078 1DE2557A
	v_mfma_f32_16x16x32_fp8_fp8 v[120:123], a[124:125], a[44:45], v[120:123]// 000000008724: D3F30078 1DE2597C
	v_mfma_f32_16x16x32_fp8_fp8 v[120:123], a[126:127], a[46:47], v[120:123]// 00000000872C: D3F30078 1DE25D7E
	v_mfma_f32_16x16x32_fp8_fp8 v[124:127], a[120:121], a[48:49], v[124:127]// 000000008734: D3F3007C 1DF26178
	v_mfma_f32_16x16x32_fp8_fp8 v[124:127], a[122:123], a[50:51], v[124:127]// 00000000873C: D3F3007C 1DF2657A
	s_add_u32 s60, 0x80, s80                                   // 000000008744: 803C50FF 00000080
	s_cmp_lt_u32 s60, s81                                      // 00000000874C: BF0A513C
	s_cselect_b32 s83, s83, 0                                  // 000000008750: 85538053
	v_mfma_f32_16x16x32_fp8_fp8 v[124:127], a[124:125], a[52:53], v[124:127]// 000000008754: D3F3007C 1DF2697C
	v_mfma_f32_16x16x32_fp8_fp8 v[124:127], a[126:127], a[54:55], v[124:127]// 00000000875C: D3F3007C 1DF26D7E
	s_waitcnt vmcnt(14)                                        // 000000008764: BF8C0F7E
	v_mfma_f32_16x16x32_fp8_fp8 v[128:131], a[128:129], a[0:1], v[128:131]// 000000008768: D3F30080 1E020180
	buffer_load_dwordx4 a[112:115], v70, s[24:27], 0 offen     // 000000008770: E05C1000 80867046
	v_mfma_f32_16x16x32_fp8_fp8 v[128:131], a[130:131], a[2:3], v[128:131]// 000000008778: D3F30080 1E020582
	v_mfma_f32_16x16x32_fp8_fp8 v[128:131], a[132:133], a[4:5], v[128:131]// 000000008780: D3F30080 1E020984
	ds_read_b128 a[56:59], v2 offset:14464                     // 000000008788: DBFE3880 38000002
	ds_read_b128 a[60:63], v2 offset:14528                     // 000000008790: DBFE38C0 3C000002
	v_mfma_f32_16x16x32_fp8_fp8 v[128:131], a[134:135], a[6:7], v[128:131]// 000000008798: D3F30080 1E020D86
	v_mfma_f32_16x16x32_fp8_fp8 v[156:159], a[136:137], a[0:1], v[156:159]// 0000000087A0: D3F3009C 1E720188
	buffer_load_dwordx4 a[116:119], v70, s[24:27], 0 offen offset:1024// 0000000087A8: E05C1400 80867446
	v_mfma_f32_16x16x32_fp8_fp8 v[156:159], a[138:139], a[2:3], v[156:159]// 0000000087B0: D3F3009C 1E72058A
	v_mfma_f32_16x16x32_fp8_fp8 v[156:159], a[140:141], a[4:5], v[156:159]// 0000000087B8: D3F3009C 1E72098C
	ds_read_b128 a[64:67], v2 offset:14976                     // 0000000087C0: DBFE3A80 40000002
	ds_read_b128 a[68:71], v2 offset:15040                     // 0000000087C8: DBFE3AC0 44000002
	v_mfma_f32_16x16x32_fp8_fp8 v[156:159], a[142:143], a[6:7], v[156:159]// 0000000087D0: D3F3009C 1E720D8E
	v_mfma_f32_16x16x32_fp8_fp8 v[132:135], a[128:129], a[8:9], v[132:135]// 0000000087D8: D3F30084 1E121180
	buffer_load_dwordx4 a[120:123], v71, s[24:27], 0 offen     // 0000000087E0: E05C1000 80867847
	v_mfma_f32_16x16x32_fp8_fp8 v[132:135], a[130:131], a[10:11], v[132:135]// 0000000087E8: D3F30084 1E121582
	v_mfma_f32_16x16x32_fp8_fp8 v[132:135], a[132:133], a[12:13], v[132:135]// 0000000087F0: D3F30084 1E121984
	ds_read_b128 a[72:75], v2 offset:15488                     // 0000000087F8: DBFE3C80 48000002
	ds_read_b128 a[76:79], v2 offset:15552                     // 000000008800: DBFE3CC0 4C000002
	v_mfma_f32_16x16x32_fp8_fp8 v[132:135], a[134:135], a[14:15], v[132:135]// 000000008808: D3F30084 1E121D86
	v_mfma_f32_16x16x32_fp8_fp8 v[160:163], a[136:137], a[8:9], v[160:163]// 000000008810: D3F300A0 1E821188
	buffer_load_dwordx4 a[124:127], v71, s[24:27], 0 offen offset:1024// 000000008818: E05C1400 80867C47
	v_mfma_f32_16x16x32_fp8_fp8 v[160:163], a[138:139], a[10:11], v[160:163]// 000000008820: D3F300A0 1E82158A
	v_mfma_f32_16x16x32_fp8_fp8 v[160:163], a[140:141], a[12:13], v[160:163]// 000000008828: D3F300A0 1E82198C
	ds_read_b128 a[80:83], v2 offset:16000                     // 000000008830: DBFE3E80 50000002
	ds_read_b128 a[84:87], v2 offset:16064                     // 000000008838: DBFE3EC0 54000002
	v_mfma_f32_16x16x32_fp8_fp8 v[160:163], a[142:143], a[14:15], v[160:163]// 000000008840: D3F300A0 1E821D8E
	v_mfma_f32_16x16x32_fp8_fp8 v[136:139], a[128:129], a[16:17], v[136:139]// 000000008848: D3F30088 1E222180
	v_mfma_f32_16x16x32_fp8_fp8 v[136:139], a[130:131], a[18:19], v[136:139]// 000000008850: D3F30088 1E222582
	v_mfma_f32_16x16x32_fp8_fp8 v[136:139], a[132:133], a[20:21], v[136:139]// 000000008858: D3F30088 1E222984
	ds_read_b128 a[88:91], v2 offset:16512                     // 000000008860: DBFE4080 58000002
	ds_read_b128 a[92:95], v2 offset:16576                     // 000000008868: DBFE40C0 5C000002
	v_mfma_f32_16x16x32_fp8_fp8 v[136:139], a[134:135], a[22:23], v[136:139]// 000000008870: D3F30088 1E222D86
	v_mfma_f32_16x16x32_fp8_fp8 v[164:167], a[136:137], a[16:17], v[164:167]// 000000008878: D3F300A4 1E922188
	v_mfma_f32_16x16x32_fp8_fp8 v[164:167], a[138:139], a[18:19], v[164:167]// 000000008880: D3F300A4 1E92258A
	v_mfma_f32_16x16x32_fp8_fp8 v[164:167], a[140:141], a[20:21], v[164:167]// 000000008888: D3F300A4 1E92298C
	ds_read_b128 a[96:99], v2 offset:17024                     // 000000008890: DBFE4280 60000002
	ds_read_b128 a[100:103], v2 offset:17088                   // 000000008898: DBFE42C0 64000002
	v_mfma_f32_16x16x32_fp8_fp8 v[164:167], a[142:143], a[22:23], v[164:167]// 0000000088A0: D3F300A4 1E922D8E
	v_mfma_f32_16x16x32_fp8_fp8 v[140:143], a[128:129], a[24:25], v[140:143]// 0000000088A8: D3F3008C 1E323180
	v_mfma_f32_16x16x32_fp8_fp8 v[140:143], a[130:131], a[26:27], v[140:143]// 0000000088B0: D3F3008C 1E323582
	v_mfma_f32_16x16x32_fp8_fp8 v[140:143], a[132:133], a[28:29], v[140:143]// 0000000088B8: D3F3008C 1E323984
	ds_read_b128 a[104:107], v2 offset:17536                   // 0000000088C0: DBFE4480 68000002
	ds_read_b128 a[108:111], v2 offset:17600                   // 0000000088C8: DBFE44C0 6C000002
	v_mfma_f32_16x16x32_fp8_fp8 v[140:143], a[134:135], a[30:31], v[140:143]// 0000000088D0: D3F3008C 1E323D86
	v_mfma_f32_16x16x32_fp8_fp8 v[168:171], a[136:137], a[24:25], v[168:171]// 0000000088D8: D3F300A8 1EA23188
	v_mfma_f32_16x16x32_fp8_fp8 v[168:171], a[138:139], a[26:27], v[168:171]// 0000000088E0: D3F300A8 1EA2358A
	v_mfma_f32_16x16x32_fp8_fp8 v[168:171], a[140:141], a[28:29], v[168:171]// 0000000088E8: D3F300A8 1EA2398C
	v_mfma_f32_16x16x32_fp8_fp8 v[168:171], a[142:143], a[30:31], v[168:171]// 0000000088F0: D3F300A8 1EA23D8E
	v_mfma_f32_16x16x32_fp8_fp8 v[144:147], a[128:129], a[32:33], v[144:147]// 0000000088F8: D3F30090 1E424180
	v_mfma_f32_16x16x32_fp8_fp8 v[144:147], a[130:131], a[34:35], v[144:147]// 000000008900: D3F30090 1E424582
	v_mfma_f32_16x16x32_fp8_fp8 v[144:147], a[132:133], a[36:37], v[144:147]// 000000008908: D3F30090 1E424984
	v_mfma_f32_16x16x32_fp8_fp8 v[144:147], a[134:135], a[38:39], v[144:147]// 000000008910: D3F30090 1E424D86
	v_mfma_f32_16x16x32_fp8_fp8 v[172:175], a[136:137], a[32:33], v[172:175]// 000000008918: D3F300AC 1EB24188
	v_mfma_f32_16x16x32_fp8_fp8 v[172:175], a[138:139], a[34:35], v[172:175]// 000000008920: D3F300AC 1EB2458A
	v_mfma_f32_16x16x32_fp8_fp8 v[172:175], a[140:141], a[36:37], v[172:175]// 000000008928: D3F300AC 1EB2498C
	v_mfma_f32_16x16x32_fp8_fp8 v[172:175], a[142:143], a[38:39], v[172:175]// 000000008930: D3F300AC 1EB24D8E
	v_mfma_f32_16x16x32_fp8_fp8 v[148:151], a[128:129], a[40:41], v[148:151]// 000000008938: D3F30094 1E525180
	v_mfma_f32_16x16x32_fp8_fp8 v[148:151], a[130:131], a[42:43], v[148:151]// 000000008940: D3F30094 1E525582
	v_mfma_f32_16x16x32_fp8_fp8 v[148:151], a[132:133], a[44:45], v[148:151]// 000000008948: D3F30094 1E525984
	v_mfma_f32_16x16x32_fp8_fp8 v[148:151], a[134:135], a[46:47], v[148:151]// 000000008950: D3F30094 1E525D86
	v_mfma_f32_16x16x32_fp8_fp8 v[176:179], a[136:137], a[40:41], v[176:179]// 000000008958: D3F300B0 1EC25188
	v_mfma_f32_16x16x32_fp8_fp8 v[176:179], a[138:139], a[42:43], v[176:179]// 000000008960: D3F300B0 1EC2558A
	v_mfma_f32_16x16x32_fp8_fp8 v[176:179], a[140:141], a[44:45], v[176:179]// 000000008968: D3F300B0 1EC2598C
	v_mfma_f32_16x16x32_fp8_fp8 v[176:179], a[142:143], a[46:47], v[176:179]// 000000008970: D3F300B0 1EC25D8E
	v_mfma_f32_16x16x32_fp8_fp8 v[152:155], a[128:129], a[48:49], v[152:155]// 000000008978: D3F30098 1E626180
	v_mfma_f32_16x16x32_fp8_fp8 v[152:155], a[130:131], a[50:51], v[152:155]// 000000008980: D3F30098 1E626582
	v_mfma_f32_16x16x32_fp8_fp8 v[152:155], a[132:133], a[52:53], v[152:155]// 000000008988: D3F30098 1E626984
	s_add_u32 s60, 0x180, s80                                  // 000000008990: 803C50FF 00000180
	s_cmp_lt_u32 s60, s81                                      // 000000008998: BF0A513C
	s_cselect_b32 s57, s57, 0                                  // 00000000899C: 85398039
	v_mfma_f32_16x16x32_fp8_fp8 v[152:155], a[134:135], a[54:55], v[152:155]// 0000000089A0: D3F30098 1E626D86
	s_add_u32 s60, 0x100, s80                                  // 0000000089A8: 803C50FF 00000100
	s_cmp_lt_u32 s60, s81                                      // 0000000089B0: BF0A513C
	s_cselect_b32 s58, s58, 0                                  // 0000000089B4: 853A803A
	v_mfma_f32_16x16x32_fp8_fp8 v[180:183], a[136:137], a[48:49], v[180:183]// 0000000089B8: D3F300B4 1ED26188
	s_add_u32 s24, s58, s24                                    // 0000000089C0: 8018183A
	s_addc_u32 s25, 0, s25                                     // 0000000089C4: 82191980
	v_mfma_f32_16x16x32_fp8_fp8 v[180:183], a[138:139], a[50:51], v[180:183]// 0000000089C8: D3F300B4 1ED2658A
	s_add_u32 s20, s57, s20                                    // 0000000089D0: 80141439
	s_addc_u32 s21, 0, s21                                     // 0000000089D4: 82151580
	v_mfma_f32_16x16x32_fp8_fp8 v[180:183], a[140:141], a[52:53], v[180:183]// 0000000089D8: D3F300B4 1ED2698C
	s_add_u32 s84, s83, s84                                    // 0000000089E0: 80545453
	s_addc_u32 s85, 0, s85                                     // 0000000089E4: 82555580
	v_mfma_f32_16x16x32_fp8_fp8 v[180:183], a[142:143], a[54:55], v[180:183]// 0000000089E8: D3F300B4 1ED26D8E
	s_addk_i32 s80, 0x80                                       // 0000000089F0: B7500080
	s_cmp_lt_i32 s80, s81                                      // 0000000089F4: BF045150
	s_cbranch_scc0 label_195F                                  // 0000000089F8: BF84015D
	s_waitcnt vmcnt(2) lgkmcnt(0)                              // 0000000089FC: BF8C0072
	s_barrier                                                  // 000000008A00: BF8A0000
	v_mfma_f32_16x16x32_fp8_fp8 v[72:75], a[112:113], a[56:57], v[72:75]// 000000008A04: D3F30048 1D227170
	buffer_load_dwordx4 a[128:131], v70, s[84:87], 0 offen     // 000000008A0C: E05C1000 80958046
	v_mfma_f32_16x16x32_fp8_fp8 v[72:75], a[114:115], a[58:59], v[72:75]// 000000008A14: D3F30048 1D227572
	v_mfma_f32_16x16x32_fp8_fp8 v[72:75], a[116:117], a[60:61], v[72:75]// 000000008A1C: D3F30048 1D227974
	v_mfma_f32_16x16x32_fp8_fp8 v[72:75], a[118:119], a[62:63], v[72:75]// 000000008A24: D3F30048 1D227D76
	v_mfma_f32_16x16x32_fp8_fp8 v[76:79], a[112:113], a[64:65], v[76:79]// 000000008A2C: D3F3004C 1D328170
	buffer_load_dwordx4 a[132:135], v70, s[84:87], 0 offen offset:1024// 000000008A34: E05C1400 80958446
	v_mfma_f32_16x16x32_fp8_fp8 v[76:79], a[114:115], a[66:67], v[76:79]// 000000008A3C: D3F3004C 1D328572
	v_mfma_f32_16x16x32_fp8_fp8 v[76:79], a[116:117], a[68:69], v[76:79]// 000000008A44: D3F3004C 1D328974
	v_mfma_f32_16x16x32_fp8_fp8 v[76:79], a[118:119], a[70:71], v[76:79]// 000000008A4C: D3F3004C 1D328D76
	v_mfma_f32_16x16x32_fp8_fp8 v[80:83], a[112:113], a[72:73], v[80:83]// 000000008A54: D3F30050 1D429170
	buffer_load_dwordx4 a[136:139], v71, s[84:87], 0 offen     // 000000008A5C: E05C1000 80958847
	v_mfma_f32_16x16x32_fp8_fp8 v[80:83], a[114:115], a[74:75], v[80:83]// 000000008A64: D3F30050 1D429572
	v_mfma_f32_16x16x32_fp8_fp8 v[80:83], a[116:117], a[76:77], v[80:83]// 000000008A6C: D3F30050 1D429974
	v_mfma_f32_16x16x32_fp8_fp8 v[80:83], a[118:119], a[78:79], v[80:83]// 000000008A74: D3F30050 1D429D76
	v_mfma_f32_16x16x32_fp8_fp8 v[84:87], a[112:113], a[80:81], v[84:87]// 000000008A7C: D3F30054 1D52A170
	buffer_load_dwordx4 a[140:143], v71, s[84:87], 0 offen offset:1024// 000000008A84: E05C1400 80958C47
	buffer_load_dword v56, s[20:23], 0 offen lds               // 000000008A8C: E0511000 80050038
	s_add_u32 m0, 0x100, s49                                   // 000000008A94: 807C31FF 00000100
	v_mfma_f32_16x16x32_fp8_fp8 v[84:87], a[114:115], a[82:83], v[84:87]// 000000008A9C: D3F30054 1D52A572
	v_mfma_f32_16x16x32_fp8_fp8 v[84:87], a[116:117], a[84:85], v[84:87]// 000000008AA4: D3F30054 1D52A974
	buffer_load_dword v57, s[20:23], 0 offen lds               // 000000008AAC: E0511000 80050039
	s_add_u32 m0, 0x200, s49                                   // 000000008AB4: 807C31FF 00000200
	v_mfma_f32_16x16x32_fp8_fp8 v[84:87], a[118:119], a[86:87], v[84:87]// 000000008ABC: D3F30054 1D52AD76
	v_mfma_f32_16x16x32_fp8_fp8 v[88:91], a[112:113], a[88:89], v[88:91]// 000000008AC4: D3F30058 1D62B170
	buffer_load_dword v58, s[20:23], 0 offen lds               // 000000008ACC: E0511000 8005003A
	s_add_u32 m0, 0x300, s49                                   // 000000008AD4: 807C31FF 00000300
	v_mfma_f32_16x16x32_fp8_fp8 v[88:91], a[114:115], a[90:91], v[88:91]// 000000008ADC: D3F30058 1D62B572
	v_mfma_f32_16x16x32_fp8_fp8 v[88:91], a[116:117], a[92:93], v[88:91]// 000000008AE4: D3F30058 1D62B974
	buffer_load_dword v59, s[20:23], 0 offen lds               // 000000008AEC: E0511000 8005003B
	s_add_u32 m0, 0x400, s49                                   // 000000008AF4: 807C31FF 00000400
	v_mfma_f32_16x16x32_fp8_fp8 v[88:91], a[118:119], a[94:95], v[88:91]// 000000008AFC: D3F30058 1D62BD76
	v_mfma_f32_16x16x32_fp8_fp8 v[92:95], a[112:113], a[96:97], v[92:95]// 000000008B04: D3F3005C 1D72C170
	buffer_load_dword v60, s[20:23], 0 offen lds               // 000000008B0C: E0511000 8005003C
	s_add_u32 m0, 0x500, s49                                   // 000000008B14: 807C31FF 00000500
	v_mfma_f32_16x16x32_fp8_fp8 v[92:95], a[114:115], a[98:99], v[92:95]// 000000008B1C: D3F3005C 1D72C572
	v_mfma_f32_16x16x32_fp8_fp8 v[92:95], a[116:117], a[100:101], v[92:95]// 000000008B24: D3F3005C 1D72C974
	buffer_load_dword v61, s[20:23], 0 offen lds               // 000000008B2C: E0511000 8005003D
	s_add_u32 m0, 0x600, s49                                   // 000000008B34: 807C31FF 00000600
	v_mfma_f32_16x16x32_fp8_fp8 v[92:95], a[118:119], a[102:103], v[92:95]// 000000008B3C: D3F3005C 1D72CD76
	v_mfma_f32_16x16x32_fp8_fp8 v[96:99], a[112:113], a[104:105], v[96:99]// 000000008B44: D3F30060 1D82D170
	buffer_load_dword v62, s[20:23], 0 offen lds               // 000000008B4C: E0511000 8005003E
	s_add_u32 m0, 0x700, s49                                   // 000000008B54: 807C31FF 00000700
	v_mfma_f32_16x16x32_fp8_fp8 v[96:99], a[114:115], a[106:107], v[96:99]// 000000008B5C: D3F30060 1D82D572
	v_mfma_f32_16x16x32_fp8_fp8 v[96:99], a[116:117], a[108:109], v[96:99]// 000000008B64: D3F30060 1D82D974
	buffer_load_dword v63, s[20:23], 0 offen lds               // 000000008B6C: E0511000 8005003F
	s_add_u32 m0, 0x800, s49                                   // 000000008B74: 807C31FF 00000800
	v_mfma_f32_16x16x32_fp8_fp8 v[96:99], a[118:119], a[110:111], v[96:99]// 000000008B7C: D3F30060 1D82DD76
	s_waitcnt vmcnt(12)                                        // 000000008B84: BF8C0F7C
	v_mfma_f32_16x16x32_fp8_fp8 v[100:103], a[120:121], a[56:57], v[100:103]// 000000008B88: D3F30064 1D927178
	buffer_load_dword v64, s[20:23], 0 offen lds               // 000000008B90: E0511000 80050040
	s_add_u32 m0, 0x900, s49                                   // 000000008B98: 807C31FF 00000900
	v_mfma_f32_16x16x32_fp8_fp8 v[100:103], a[122:123], a[58:59], v[100:103]// 000000008BA0: D3F30064 1D92757A
	v_mfma_f32_16x16x32_fp8_fp8 v[100:103], a[124:125], a[60:61], v[100:103]// 000000008BA8: D3F30064 1D92797C
	buffer_load_dword v65, s[20:23], 0 offen lds               // 000000008BB0: E0511000 80050041
	s_add_u32 m0, 0xa00, s49                                   // 000000008BB8: 807C31FF 00000A00
	v_mfma_f32_16x16x32_fp8_fp8 v[100:103], a[126:127], a[62:63], v[100:103]// 000000008BC0: D3F30064 1D927D7E
	v_mfma_f32_16x16x32_fp8_fp8 v[104:107], a[120:121], a[64:65], v[104:107]// 000000008BC8: D3F30068 1DA28178
	buffer_load_dword v66, s[20:23], 0 offen lds               // 000000008BD0: E0511000 80050042
	s_add_u32 m0, 0xb00, s49                                   // 000000008BD8: 807C31FF 00000B00
	v_mfma_f32_16x16x32_fp8_fp8 v[104:107], a[122:123], a[66:67], v[104:107]// 000000008BE0: D3F30068 1DA2857A
	v_mfma_f32_16x16x32_fp8_fp8 v[104:107], a[124:125], a[68:69], v[104:107]// 000000008BE8: D3F30068 1DA2897C
	buffer_load_dword v67, s[20:23], 0 offen lds               // 000000008BF0: E0511000 80050043
	s_add_u32 m0, 0xc00, s49                                   // 000000008BF8: 807C31FF 00000C00
	v_mfma_f32_16x16x32_fp8_fp8 v[104:107], a[126:127], a[70:71], v[104:107]// 000000008C00: D3F30068 1DA28D7E
	v_mfma_f32_16x16x32_fp8_fp8 v[108:111], a[120:121], a[72:73], v[108:111]// 000000008C08: D3F3006C 1DB29178
	buffer_load_dword v68, s[20:23], 0 offen lds               // 000000008C10: E0511000 80050044
	s_add_u32 m0, 0xd00, s49                                   // 000000008C18: 807C31FF 00000D00
	v_mfma_f32_16x16x32_fp8_fp8 v[108:111], a[122:123], a[74:75], v[108:111]// 000000008C20: D3F3006C 1DB2957A
	v_mfma_f32_16x16x32_fp8_fp8 v[108:111], a[124:125], a[76:77], v[108:111]// 000000008C28: D3F3006C 1DB2997C
	buffer_load_dword v69, s[20:23], 0 offen lds               // 000000008C30: E0511000 80050045
	s_add_u32 m0, 0, s48                                       // 000000008C38: 807C3080
	v_mfma_f32_16x16x32_fp8_fp8 v[108:111], a[126:127], a[78:79], v[108:111]// 000000008C3C: D3F3006C 1DB29D7E
	v_mfma_f32_16x16x32_fp8_fp8 v[112:115], a[120:121], a[80:81], v[112:115]// 000000008C44: D3F30070 1DC2A178
	v_mfma_f32_16x16x32_fp8_fp8 v[112:115], a[122:123], a[82:83], v[112:115]// 000000008C4C: D3F30070 1DC2A57A
	v_mfma_f32_16x16x32_fp8_fp8 v[112:115], a[124:125], a[84:85], v[112:115]// 000000008C54: D3F30070 1DC2A97C
	v_mfma_f32_16x16x32_fp8_fp8 v[112:115], a[126:127], a[86:87], v[112:115]// 000000008C5C: D3F30070 1DC2AD7E
	v_mfma_f32_16x16x32_fp8_fp8 v[116:119], a[120:121], a[88:89], v[116:119]// 000000008C64: D3F30074 1DD2B178
	v_mfma_f32_16x16x32_fp8_fp8 v[116:119], a[122:123], a[90:91], v[116:119]// 000000008C6C: D3F30074 1DD2B57A
	v_mfma_f32_16x16x32_fp8_fp8 v[116:119], a[124:125], a[92:93], v[116:119]// 000000008C74: D3F30074 1DD2B97C
	v_mfma_f32_16x16x32_fp8_fp8 v[116:119], a[126:127], a[94:95], v[116:119]// 000000008C7C: D3F30074 1DD2BD7E
	v_mfma_f32_16x16x32_fp8_fp8 v[120:123], a[120:121], a[96:97], v[120:123]// 000000008C84: D3F30078 1DE2C178
	v_mfma_f32_16x16x32_fp8_fp8 v[120:123], a[122:123], a[98:99], v[120:123]// 000000008C8C: D3F30078 1DE2C57A
	v_mfma_f32_16x16x32_fp8_fp8 v[120:123], a[124:125], a[100:101], v[120:123]// 000000008C94: D3F30078 1DE2C97C
	v_mfma_f32_16x16x32_fp8_fp8 v[120:123], a[126:127], a[102:103], v[120:123]// 000000008C9C: D3F30078 1DE2CD7E
	v_mfma_f32_16x16x32_fp8_fp8 v[124:127], a[120:121], a[104:105], v[124:127]// 000000008CA4: D3F3007C 1DF2D178
	v_mfma_f32_16x16x32_fp8_fp8 v[124:127], a[122:123], a[106:107], v[124:127]// 000000008CAC: D3F3007C 1DF2D57A
	s_add_u32 s60, 0x80, s80                                   // 000000008CB4: 803C50FF 00000080
	s_cmp_lt_u32 s60, s81                                      // 000000008CBC: BF0A513C
	s_cselect_b32 s83, s83, 0                                  // 000000008CC0: 85538053
	v_mfma_f32_16x16x32_fp8_fp8 v[124:127], a[124:125], a[108:109], v[124:127]// 000000008CC4: D3F3007C 1DF2D97C
	v_mfma_f32_16x16x32_fp8_fp8 v[124:127], a[126:127], a[110:111], v[124:127]// 000000008CCC: D3F3007C 1DF2DD7E
	s_waitcnt vmcnt(14)                                        // 000000008CD4: BF8C0F7E
	v_mfma_f32_16x16x32_fp8_fp8 v[128:131], a[128:129], a[56:57], v[128:131]// 000000008CD8: D3F30080 1E027180
	buffer_load_dwordx4 a[112:115], v70, s[24:27], 0 offen     // 000000008CE0: E05C1000 80867046
	v_mfma_f32_16x16x32_fp8_fp8 v[128:131], a[130:131], a[58:59], v[128:131]// 000000008CE8: D3F30080 1E027582
	v_mfma_f32_16x16x32_fp8_fp8 v[128:131], a[132:133], a[60:61], v[128:131]// 000000008CF0: D3F30080 1E027984
	ds_read_b128 a[0:3], v2                                    // 000000008CF8: DBFE0000 00000002
	ds_read_b128 a[4:7], v2 offset:64                          // 000000008D00: DBFE0040 04000002
	v_mfma_f32_16x16x32_fp8_fp8 v[128:131], a[134:135], a[62:63], v[128:131]// 000000008D08: D3F30080 1E027D86
	v_mfma_f32_16x16x32_fp8_fp8 v[156:159], a[136:137], a[56:57], v[156:159]// 000000008D10: D3F3009C 1E727188
	buffer_load_dwordx4 a[116:119], v70, s[24:27], 0 offen offset:1024// 000000008D18: E05C1400 80867446
	v_mfma_f32_16x16x32_fp8_fp8 v[156:159], a[138:139], a[58:59], v[156:159]// 000000008D20: D3F3009C 1E72758A
	v_mfma_f32_16x16x32_fp8_fp8 v[156:159], a[140:141], a[60:61], v[156:159]// 000000008D28: D3F3009C 1E72798C
	ds_read_b128 a[8:11], v2 offset:512                        // 000000008D30: DBFE0200 08000002
	ds_read_b128 a[12:15], v2 offset:576                       // 000000008D38: DBFE0240 0C000002
	v_mfma_f32_16x16x32_fp8_fp8 v[156:159], a[142:143], a[62:63], v[156:159]// 000000008D40: D3F3009C 1E727D8E
	v_mfma_f32_16x16x32_fp8_fp8 v[132:135], a[128:129], a[64:65], v[132:135]// 000000008D48: D3F30084 1E128180
	buffer_load_dwordx4 a[120:123], v71, s[24:27], 0 offen     // 000000008D50: E05C1000 80867847
	v_mfma_f32_16x16x32_fp8_fp8 v[132:135], a[130:131], a[66:67], v[132:135]// 000000008D58: D3F30084 1E128582
	v_mfma_f32_16x16x32_fp8_fp8 v[132:135], a[132:133], a[68:69], v[132:135]// 000000008D60: D3F30084 1E128984
	ds_read_b128 a[16:19], v2 offset:1024                      // 000000008D68: DBFE0400 10000002
	ds_read_b128 a[20:23], v2 offset:1088                      // 000000008D70: DBFE0440 14000002
	v_mfma_f32_16x16x32_fp8_fp8 v[132:135], a[134:135], a[70:71], v[132:135]// 000000008D78: D3F30084 1E128D86
	v_mfma_f32_16x16x32_fp8_fp8 v[160:163], a[136:137], a[64:65], v[160:163]// 000000008D80: D3F300A0 1E828188
	buffer_load_dwordx4 a[124:127], v71, s[24:27], 0 offen offset:1024// 000000008D88: E05C1400 80867C47
	v_mfma_f32_16x16x32_fp8_fp8 v[160:163], a[138:139], a[66:67], v[160:163]// 000000008D90: D3F300A0 1E82858A
	v_mfma_f32_16x16x32_fp8_fp8 v[160:163], a[140:141], a[68:69], v[160:163]// 000000008D98: D3F300A0 1E82898C
	ds_read_b128 a[24:27], v2 offset:1536                      // 000000008DA0: DBFE0600 18000002
	ds_read_b128 a[28:31], v2 offset:1600                      // 000000008DA8: DBFE0640 1C000002
	v_mfma_f32_16x16x32_fp8_fp8 v[160:163], a[142:143], a[70:71], v[160:163]// 000000008DB0: D3F300A0 1E828D8E
	v_mfma_f32_16x16x32_fp8_fp8 v[136:139], a[128:129], a[72:73], v[136:139]// 000000008DB8: D3F30088 1E229180
	v_mfma_f32_16x16x32_fp8_fp8 v[136:139], a[130:131], a[74:75], v[136:139]// 000000008DC0: D3F30088 1E229582
	v_mfma_f32_16x16x32_fp8_fp8 v[136:139], a[132:133], a[76:77], v[136:139]// 000000008DC8: D3F30088 1E229984
	ds_read_b128 a[32:35], v2 offset:2048                      // 000000008DD0: DBFE0800 20000002
	ds_read_b128 a[36:39], v2 offset:2112                      // 000000008DD8: DBFE0840 24000002
	v_mfma_f32_16x16x32_fp8_fp8 v[136:139], a[134:135], a[78:79], v[136:139]// 000000008DE0: D3F30088 1E229D86
	v_mfma_f32_16x16x32_fp8_fp8 v[164:167], a[136:137], a[72:73], v[164:167]// 000000008DE8: D3F300A4 1E929188
	v_mfma_f32_16x16x32_fp8_fp8 v[164:167], a[138:139], a[74:75], v[164:167]// 000000008DF0: D3F300A4 1E92958A
	v_mfma_f32_16x16x32_fp8_fp8 v[164:167], a[140:141], a[76:77], v[164:167]// 000000008DF8: D3F300A4 1E92998C
	ds_read_b128 a[40:43], v2 offset:2560                      // 000000008E00: DBFE0A00 28000002
	ds_read_b128 a[44:47], v2 offset:2624                      // 000000008E08: DBFE0A40 2C000002
	v_mfma_f32_16x16x32_fp8_fp8 v[164:167], a[142:143], a[78:79], v[164:167]// 000000008E10: D3F300A4 1E929D8E
	v_mfma_f32_16x16x32_fp8_fp8 v[140:143], a[128:129], a[80:81], v[140:143]// 000000008E18: D3F3008C 1E32A180
	v_mfma_f32_16x16x32_fp8_fp8 v[140:143], a[130:131], a[82:83], v[140:143]// 000000008E20: D3F3008C 1E32A582
	v_mfma_f32_16x16x32_fp8_fp8 v[140:143], a[132:133], a[84:85], v[140:143]// 000000008E28: D3F3008C 1E32A984
	ds_read_b128 a[48:51], v2 offset:3072                      // 000000008E30: DBFE0C00 30000002
	ds_read_b128 a[52:55], v2 offset:3136                      // 000000008E38: DBFE0C40 34000002
	v_mfma_f32_16x16x32_fp8_fp8 v[140:143], a[134:135], a[86:87], v[140:143]// 000000008E40: D3F3008C 1E32AD86
	v_mfma_f32_16x16x32_fp8_fp8 v[168:171], a[136:137], a[80:81], v[168:171]// 000000008E48: D3F300A8 1EA2A188
	v_mfma_f32_16x16x32_fp8_fp8 v[168:171], a[138:139], a[82:83], v[168:171]// 000000008E50: D3F300A8 1EA2A58A
	v_mfma_f32_16x16x32_fp8_fp8 v[168:171], a[140:141], a[84:85], v[168:171]// 000000008E58: D3F300A8 1EA2A98C
	v_mfma_f32_16x16x32_fp8_fp8 v[168:171], a[142:143], a[86:87], v[168:171]// 000000008E60: D3F300A8 1EA2AD8E
	v_mfma_f32_16x16x32_fp8_fp8 v[144:147], a[128:129], a[88:89], v[144:147]// 000000008E68: D3F30090 1E42B180
	v_mfma_f32_16x16x32_fp8_fp8 v[144:147], a[130:131], a[90:91], v[144:147]// 000000008E70: D3F30090 1E42B582
	v_mfma_f32_16x16x32_fp8_fp8 v[144:147], a[132:133], a[92:93], v[144:147]// 000000008E78: D3F30090 1E42B984
	v_mfma_f32_16x16x32_fp8_fp8 v[144:147], a[134:135], a[94:95], v[144:147]// 000000008E80: D3F30090 1E42BD86
	v_mfma_f32_16x16x32_fp8_fp8 v[172:175], a[136:137], a[88:89], v[172:175]// 000000008E88: D3F300AC 1EB2B188
	v_mfma_f32_16x16x32_fp8_fp8 v[172:175], a[138:139], a[90:91], v[172:175]// 000000008E90: D3F300AC 1EB2B58A
	v_mfma_f32_16x16x32_fp8_fp8 v[172:175], a[140:141], a[92:93], v[172:175]// 000000008E98: D3F300AC 1EB2B98C
	v_mfma_f32_16x16x32_fp8_fp8 v[172:175], a[142:143], a[94:95], v[172:175]// 000000008EA0: D3F300AC 1EB2BD8E
	v_mfma_f32_16x16x32_fp8_fp8 v[148:151], a[128:129], a[96:97], v[148:151]// 000000008EA8: D3F30094 1E52C180
	v_mfma_f32_16x16x32_fp8_fp8 v[148:151], a[130:131], a[98:99], v[148:151]// 000000008EB0: D3F30094 1E52C582
	v_mfma_f32_16x16x32_fp8_fp8 v[148:151], a[132:133], a[100:101], v[148:151]// 000000008EB8: D3F30094 1E52C984
	v_mfma_f32_16x16x32_fp8_fp8 v[148:151], a[134:135], a[102:103], v[148:151]// 000000008EC0: D3F30094 1E52CD86
	v_mfma_f32_16x16x32_fp8_fp8 v[176:179], a[136:137], a[96:97], v[176:179]// 000000008EC8: D3F300B0 1EC2C188
	v_mfma_f32_16x16x32_fp8_fp8 v[176:179], a[138:139], a[98:99], v[176:179]// 000000008ED0: D3F300B0 1EC2C58A
	v_mfma_f32_16x16x32_fp8_fp8 v[176:179], a[140:141], a[100:101], v[176:179]// 000000008ED8: D3F300B0 1EC2C98C
	v_mfma_f32_16x16x32_fp8_fp8 v[176:179], a[142:143], a[102:103], v[176:179]// 000000008EE0: D3F300B0 1EC2CD8E
	v_mfma_f32_16x16x32_fp8_fp8 v[152:155], a[128:129], a[104:105], v[152:155]// 000000008EE8: D3F30098 1E62D180
	v_mfma_f32_16x16x32_fp8_fp8 v[152:155], a[130:131], a[106:107], v[152:155]// 000000008EF0: D3F30098 1E62D582
	v_mfma_f32_16x16x32_fp8_fp8 v[152:155], a[132:133], a[108:109], v[152:155]// 000000008EF8: D3F30098 1E62D984
	s_add_u32 s60, 0x180, s80                                  // 000000008F00: 803C50FF 00000180
	s_cmp_lt_u32 s60, s81                                      // 000000008F08: BF0A513C
	s_cselect_b32 s57, s57, 0                                  // 000000008F0C: 85398039
	v_mfma_f32_16x16x32_fp8_fp8 v[152:155], a[134:135], a[110:111], v[152:155]// 000000008F10: D3F30098 1E62DD86
	s_add_u32 s60, 0x100, s80                                  // 000000008F18: 803C50FF 00000100
	s_cmp_lt_u32 s60, s81                                      // 000000008F20: BF0A513C
	s_cselect_b32 s58, s58, 0                                  // 000000008F24: 853A803A
	v_mfma_f32_16x16x32_fp8_fp8 v[180:183], a[136:137], a[104:105], v[180:183]// 000000008F28: D3F300B4 1ED2D188
	s_add_u32 s24, s58, s24                                    // 000000008F30: 8018183A
	s_addc_u32 s25, 0, s25                                     // 000000008F34: 82191980
	v_mfma_f32_16x16x32_fp8_fp8 v[180:183], a[138:139], a[106:107], v[180:183]// 000000008F38: D3F300B4 1ED2D58A
	s_add_u32 s20, s57, s20                                    // 000000008F40: 80141439
	s_addc_u32 s21, 0, s21                                     // 000000008F44: 82151580
	v_mfma_f32_16x16x32_fp8_fp8 v[180:183], a[140:141], a[108:109], v[180:183]// 000000008F48: D3F300B4 1ED2D98C
	s_add_u32 s84, s83, s84                                    // 000000008F50: 80545453
	s_addc_u32 s85, 0, s85                                     // 000000008F54: 82555580
	v_mfma_f32_16x16x32_fp8_fp8 v[180:183], a[142:143], a[110:111], v[180:183]// 000000008F58: D3F300B4 1ED2DD8E
	s_addk_i32 s80, 0x80                                       // 000000008F60: B7500080
	s_cmp_lt_i32 s80, s81                                      // 000000008F64: BF045150
	s_cbranch_scc0 label_195F                                  // 000000008F68: BF840001
	s_branch label_16A6                                        // 000000008F6C: BF82FD47

0000000000008f70 <label_195F>:
	v_mul_f32_dpp v72, v24, v72 row_newbcast:0 row_mask:0xf bank_mask:0xf// 000000008F70: 0A9090FA FF015018
	v_mul_f32_dpp v73, v24, v73 row_newbcast:1 row_mask:0xf bank_mask:0xf// 000000008F78: 0A9292FA FF015118
	v_mul_f32_dpp v74, v24, v74 row_newbcast:2 row_mask:0xf bank_mask:0xf// 000000008F80: 0A9494FA FF015218
	v_mul_f32_dpp v75, v24, v75 row_newbcast:3 row_mask:0xf bank_mask:0xf// 000000008F88: 0A9696FA FF015318
	v_mul_f32_dpp v76, v24, v76 row_newbcast:0 row_mask:0xf bank_mask:0xf// 000000008F90: 0A9898FA FF015018
	v_mul_f32_dpp v77, v24, v77 row_newbcast:1 row_mask:0xf bank_mask:0xf// 000000008F98: 0A9A9AFA FF015118
	v_mul_f32_dpp v78, v24, v78 row_newbcast:2 row_mask:0xf bank_mask:0xf// 000000008FA0: 0A9C9CFA FF015218
	v_mul_f32_dpp v79, v24, v79 row_newbcast:3 row_mask:0xf bank_mask:0xf// 000000008FA8: 0A9E9EFA FF015318
	v_mul_f32_dpp v80, v24, v80 row_newbcast:0 row_mask:0xf bank_mask:0xf// 000000008FB0: 0AA0A0FA FF015018
	v_mul_f32_dpp v81, v24, v81 row_newbcast:1 row_mask:0xf bank_mask:0xf// 000000008FB8: 0AA2A2FA FF015118
	v_mul_f32_dpp v82, v24, v82 row_newbcast:2 row_mask:0xf bank_mask:0xf// 000000008FC0: 0AA4A4FA FF015218
	v_mul_f32_dpp v83, v24, v83 row_newbcast:3 row_mask:0xf bank_mask:0xf// 000000008FC8: 0AA6A6FA FF015318
	v_mul_f32_dpp v84, v24, v84 row_newbcast:0 row_mask:0xf bank_mask:0xf// 000000008FD0: 0AA8A8FA FF015018
	v_mul_f32_dpp v85, v24, v85 row_newbcast:1 row_mask:0xf bank_mask:0xf// 000000008FD8: 0AAAAAFA FF015118
	v_mul_f32_dpp v86, v24, v86 row_newbcast:2 row_mask:0xf bank_mask:0xf// 000000008FE0: 0AACACFA FF015218
	v_mul_f32_dpp v87, v24, v87 row_newbcast:3 row_mask:0xf bank_mask:0xf// 000000008FE8: 0AAEAEFA FF015318
	v_mul_f32_dpp v88, v24, v88 row_newbcast:0 row_mask:0xf bank_mask:0xf// 000000008FF0: 0AB0B0FA FF015018
	v_mul_f32_dpp v89, v24, v89 row_newbcast:1 row_mask:0xf bank_mask:0xf// 000000008FF8: 0AB2B2FA FF015118
	v_mul_f32_dpp v90, v24, v90 row_newbcast:2 row_mask:0xf bank_mask:0xf// 000000009000: 0AB4B4FA FF015218
	v_mul_f32_dpp v91, v24, v91 row_newbcast:3 row_mask:0xf bank_mask:0xf// 000000009008: 0AB6B6FA FF015318
	v_mul_f32_dpp v92, v24, v92 row_newbcast:0 row_mask:0xf bank_mask:0xf// 000000009010: 0AB8B8FA FF015018
	v_mul_f32_dpp v93, v24, v93 row_newbcast:1 row_mask:0xf bank_mask:0xf// 000000009018: 0ABABAFA FF015118
	v_mul_f32_dpp v94, v24, v94 row_newbcast:2 row_mask:0xf bank_mask:0xf// 000000009020: 0ABCBCFA FF015218
	v_mul_f32_dpp v95, v24, v95 row_newbcast:3 row_mask:0xf bank_mask:0xf// 000000009028: 0ABEBEFA FF015318
	v_mul_f32_dpp v96, v24, v96 row_newbcast:0 row_mask:0xf bank_mask:0xf// 000000009030: 0AC0C0FA FF015018
	v_mul_f32_dpp v97, v24, v97 row_newbcast:1 row_mask:0xf bank_mask:0xf// 000000009038: 0AC2C2FA FF015118
	v_mul_f32_dpp v98, v24, v98 row_newbcast:2 row_mask:0xf bank_mask:0xf// 000000009040: 0AC4C4FA FF015218
	v_mul_f32_dpp v99, v24, v99 row_newbcast:3 row_mask:0xf bank_mask:0xf// 000000009048: 0AC6C6FA FF015318
	v_mul_f32_dpp v100, v24, v100 row_newbcast:4 row_mask:0xf bank_mask:0xf// 000000009050: 0AC8C8FA FF015418
	v_mul_f32_dpp v101, v24, v101 row_newbcast:5 row_mask:0xf bank_mask:0xf// 000000009058: 0ACACAFA FF015518
	v_mul_f32_dpp v102, v24, v102 row_newbcast:6 row_mask:0xf bank_mask:0xf// 000000009060: 0ACCCCFA FF015618
	v_mul_f32_dpp v103, v24, v103 row_newbcast:7 row_mask:0xf bank_mask:0xf// 000000009068: 0ACECEFA FF015718
	v_mul_f32_dpp v104, v24, v104 row_newbcast:4 row_mask:0xf bank_mask:0xf// 000000009070: 0AD0D0FA FF015418
	v_mul_f32_dpp v105, v24, v105 row_newbcast:5 row_mask:0xf bank_mask:0xf// 000000009078: 0AD2D2FA FF015518
	v_mul_f32_dpp v106, v24, v106 row_newbcast:6 row_mask:0xf bank_mask:0xf// 000000009080: 0AD4D4FA FF015618
	v_mul_f32_dpp v107, v24, v107 row_newbcast:7 row_mask:0xf bank_mask:0xf// 000000009088: 0AD6D6FA FF015718
	v_mul_f32_dpp v108, v24, v108 row_newbcast:4 row_mask:0xf bank_mask:0xf// 000000009090: 0AD8D8FA FF015418
	v_mul_f32_dpp v109, v24, v109 row_newbcast:5 row_mask:0xf bank_mask:0xf// 000000009098: 0ADADAFA FF015518
	v_mul_f32_dpp v110, v24, v110 row_newbcast:6 row_mask:0xf bank_mask:0xf// 0000000090A0: 0ADCDCFA FF015618
	v_mul_f32_dpp v111, v24, v111 row_newbcast:7 row_mask:0xf bank_mask:0xf// 0000000090A8: 0ADEDEFA FF015718
	v_mul_f32_dpp v112, v24, v112 row_newbcast:4 row_mask:0xf bank_mask:0xf// 0000000090B0: 0AE0E0FA FF015418
	v_mul_f32_dpp v113, v24, v113 row_newbcast:5 row_mask:0xf bank_mask:0xf// 0000000090B8: 0AE2E2FA FF015518
	v_mul_f32_dpp v114, v24, v114 row_newbcast:6 row_mask:0xf bank_mask:0xf// 0000000090C0: 0AE4E4FA FF015618
	v_mul_f32_dpp v115, v24, v115 row_newbcast:7 row_mask:0xf bank_mask:0xf// 0000000090C8: 0AE6E6FA FF015718
	v_mul_f32_dpp v116, v24, v116 row_newbcast:4 row_mask:0xf bank_mask:0xf// 0000000090D0: 0AE8E8FA FF015418
	v_mul_f32_dpp v117, v24, v117 row_newbcast:5 row_mask:0xf bank_mask:0xf// 0000000090D8: 0AEAEAFA FF015518
	v_mul_f32_dpp v118, v24, v118 row_newbcast:6 row_mask:0xf bank_mask:0xf// 0000000090E0: 0AECECFA FF015618
	v_mul_f32_dpp v119, v24, v119 row_newbcast:7 row_mask:0xf bank_mask:0xf// 0000000090E8: 0AEEEEFA FF015718
	v_mul_f32_dpp v120, v24, v120 row_newbcast:4 row_mask:0xf bank_mask:0xf// 0000000090F0: 0AF0F0FA FF015418
	v_mul_f32_dpp v121, v24, v121 row_newbcast:5 row_mask:0xf bank_mask:0xf// 0000000090F8: 0AF2F2FA FF015518
	v_mul_f32_dpp v122, v24, v122 row_newbcast:6 row_mask:0xf bank_mask:0xf// 000000009100: 0AF4F4FA FF015618
	v_mul_f32_dpp v123, v24, v123 row_newbcast:7 row_mask:0xf bank_mask:0xf// 000000009108: 0AF6F6FA FF015718
	v_mul_f32_dpp v124, v24, v124 row_newbcast:4 row_mask:0xf bank_mask:0xf// 000000009110: 0AF8F8FA FF015418
	v_mul_f32_dpp v125, v24, v125 row_newbcast:5 row_mask:0xf bank_mask:0xf// 000000009118: 0AFAFAFA FF015518
	v_mul_f32_dpp v126, v24, v126 row_newbcast:6 row_mask:0xf bank_mask:0xf// 000000009120: 0AFCFCFA FF015618
	v_mul_f32_dpp v127, v24, v127 row_newbcast:7 row_mask:0xf bank_mask:0xf// 000000009128: 0AFEFEFA FF015718
	v_mul_f32_dpp v128, v26, v128 row_newbcast:0 row_mask:0xf bank_mask:0xf// 000000009130: 0B0100FA FF01501A
	v_mul_f32_dpp v129, v26, v129 row_newbcast:1 row_mask:0xf bank_mask:0xf// 000000009138: 0B0302FA FF01511A
	v_mul_f32_dpp v130, v26, v130 row_newbcast:2 row_mask:0xf bank_mask:0xf// 000000009140: 0B0504FA FF01521A
	v_mul_f32_dpp v131, v26, v131 row_newbcast:3 row_mask:0xf bank_mask:0xf// 000000009148: 0B0706FA FF01531A
	v_mul_f32_dpp v132, v26, v132 row_newbcast:0 row_mask:0xf bank_mask:0xf// 000000009150: 0B0908FA FF01501A
	v_mul_f32_dpp v133, v26, v133 row_newbcast:1 row_mask:0xf bank_mask:0xf// 000000009158: 0B0B0AFA FF01511A
	v_mul_f32_dpp v134, v26, v134 row_newbcast:2 row_mask:0xf bank_mask:0xf// 000000009160: 0B0D0CFA FF01521A
	v_mul_f32_dpp v135, v26, v135 row_newbcast:3 row_mask:0xf bank_mask:0xf// 000000009168: 0B0F0EFA FF01531A
	v_mul_f32_dpp v136, v26, v136 row_newbcast:0 row_mask:0xf bank_mask:0xf// 000000009170: 0B1110FA FF01501A
	v_mul_f32_dpp v137, v26, v137 row_newbcast:1 row_mask:0xf bank_mask:0xf// 000000009178: 0B1312FA FF01511A
	v_mul_f32_dpp v138, v26, v138 row_newbcast:2 row_mask:0xf bank_mask:0xf// 000000009180: 0B1514FA FF01521A
	v_mul_f32_dpp v139, v26, v139 row_newbcast:3 row_mask:0xf bank_mask:0xf// 000000009188: 0B1716FA FF01531A
	v_mul_f32_dpp v140, v26, v140 row_newbcast:0 row_mask:0xf bank_mask:0xf// 000000009190: 0B1918FA FF01501A
	v_mul_f32_dpp v141, v26, v141 row_newbcast:1 row_mask:0xf bank_mask:0xf// 000000009198: 0B1B1AFA FF01511A
	v_mul_f32_dpp v142, v26, v142 row_newbcast:2 row_mask:0xf bank_mask:0xf// 0000000091A0: 0B1D1CFA FF01521A
	v_mul_f32_dpp v143, v26, v143 row_newbcast:3 row_mask:0xf bank_mask:0xf// 0000000091A8: 0B1F1EFA FF01531A
	v_mul_f32_dpp v144, v26, v144 row_newbcast:0 row_mask:0xf bank_mask:0xf// 0000000091B0: 0B2120FA FF01501A
	v_mul_f32_dpp v145, v26, v145 row_newbcast:1 row_mask:0xf bank_mask:0xf// 0000000091B8: 0B2322FA FF01511A
	v_mul_f32_dpp v146, v26, v146 row_newbcast:2 row_mask:0xf bank_mask:0xf// 0000000091C0: 0B2524FA FF01521A
	v_mul_f32_dpp v147, v26, v147 row_newbcast:3 row_mask:0xf bank_mask:0xf// 0000000091C8: 0B2726FA FF01531A
	v_mul_f32_dpp v148, v26, v148 row_newbcast:0 row_mask:0xf bank_mask:0xf// 0000000091D0: 0B2928FA FF01501A
	v_mul_f32_dpp v149, v26, v149 row_newbcast:1 row_mask:0xf bank_mask:0xf// 0000000091D8: 0B2B2AFA FF01511A
	v_mul_f32_dpp v150, v26, v150 row_newbcast:2 row_mask:0xf bank_mask:0xf// 0000000091E0: 0B2D2CFA FF01521A
	v_mul_f32_dpp v151, v26, v151 row_newbcast:3 row_mask:0xf bank_mask:0xf// 0000000091E8: 0B2F2EFA FF01531A
	v_mul_f32_dpp v152, v26, v152 row_newbcast:0 row_mask:0xf bank_mask:0xf// 0000000091F0: 0B3130FA FF01501A
	v_mul_f32_dpp v153, v26, v153 row_newbcast:1 row_mask:0xf bank_mask:0xf// 0000000091F8: 0B3332FA FF01511A
	v_mul_f32_dpp v154, v26, v154 row_newbcast:2 row_mask:0xf bank_mask:0xf// 000000009200: 0B3534FA FF01521A
	v_mul_f32_dpp v155, v26, v155 row_newbcast:3 row_mask:0xf bank_mask:0xf// 000000009208: 0B3736FA FF01531A
	v_mul_f32_dpp v156, v26, v156 row_newbcast:4 row_mask:0xf bank_mask:0xf// 000000009210: 0B3938FA FF01541A
	v_mul_f32_dpp v157, v26, v157 row_newbcast:5 row_mask:0xf bank_mask:0xf// 000000009218: 0B3B3AFA FF01551A
	v_mul_f32_dpp v158, v26, v158 row_newbcast:6 row_mask:0xf bank_mask:0xf// 000000009220: 0B3D3CFA FF01561A
	v_mul_f32_dpp v159, v26, v159 row_newbcast:7 row_mask:0xf bank_mask:0xf// 000000009228: 0B3F3EFA FF01571A
	v_mul_f32_dpp v160, v26, v160 row_newbcast:4 row_mask:0xf bank_mask:0xf// 000000009230: 0B4140FA FF01541A
	v_mul_f32_dpp v161, v26, v161 row_newbcast:5 row_mask:0xf bank_mask:0xf// 000000009238: 0B4342FA FF01551A
	v_mul_f32_dpp v162, v26, v162 row_newbcast:6 row_mask:0xf bank_mask:0xf// 000000009240: 0B4544FA FF01561A
	v_mul_f32_dpp v163, v26, v163 row_newbcast:7 row_mask:0xf bank_mask:0xf// 000000009248: 0B4746FA FF01571A
	v_mul_f32_dpp v164, v26, v164 row_newbcast:4 row_mask:0xf bank_mask:0xf// 000000009250: 0B4948FA FF01541A
	v_mul_f32_dpp v165, v26, v165 row_newbcast:5 row_mask:0xf bank_mask:0xf// 000000009258: 0B4B4AFA FF01551A
	v_mul_f32_dpp v166, v26, v166 row_newbcast:6 row_mask:0xf bank_mask:0xf// 000000009260: 0B4D4CFA FF01561A
	v_mul_f32_dpp v167, v26, v167 row_newbcast:7 row_mask:0xf bank_mask:0xf// 000000009268: 0B4F4EFA FF01571A
	v_mul_f32_dpp v168, v26, v168 row_newbcast:4 row_mask:0xf bank_mask:0xf// 000000009270: 0B5150FA FF01541A
	v_mul_f32_dpp v169, v26, v169 row_newbcast:5 row_mask:0xf bank_mask:0xf// 000000009278: 0B5352FA FF01551A
	v_mul_f32_dpp v170, v26, v170 row_newbcast:6 row_mask:0xf bank_mask:0xf// 000000009280: 0B5554FA FF01561A
	v_mul_f32_dpp v171, v26, v171 row_newbcast:7 row_mask:0xf bank_mask:0xf// 000000009288: 0B5756FA FF01571A
	v_mul_f32_dpp v172, v26, v172 row_newbcast:4 row_mask:0xf bank_mask:0xf// 000000009290: 0B5958FA FF01541A
	v_mul_f32_dpp v173, v26, v173 row_newbcast:5 row_mask:0xf bank_mask:0xf// 000000009298: 0B5B5AFA FF01551A
	v_mul_f32_dpp v174, v26, v174 row_newbcast:6 row_mask:0xf bank_mask:0xf// 0000000092A0: 0B5D5CFA FF01561A
	v_mul_f32_dpp v175, v26, v175 row_newbcast:7 row_mask:0xf bank_mask:0xf// 0000000092A8: 0B5F5EFA FF01571A
	v_mul_f32_dpp v176, v26, v176 row_newbcast:4 row_mask:0xf bank_mask:0xf// 0000000092B0: 0B6160FA FF01541A
	v_mul_f32_dpp v177, v26, v177 row_newbcast:5 row_mask:0xf bank_mask:0xf// 0000000092B8: 0B6362FA FF01551A
	v_mul_f32_dpp v178, v26, v178 row_newbcast:6 row_mask:0xf bank_mask:0xf// 0000000092C0: 0B6564FA FF01561A
	v_mul_f32_dpp v179, v26, v179 row_newbcast:7 row_mask:0xf bank_mask:0xf// 0000000092C8: 0B6766FA FF01571A
	v_mul_f32_dpp v180, v26, v180 row_newbcast:4 row_mask:0xf bank_mask:0xf// 0000000092D0: 0B6968FA FF01541A
	v_mul_f32_dpp v181, v26, v181 row_newbcast:5 row_mask:0xf bank_mask:0xf// 0000000092D8: 0B6B6AFA FF01551A
	v_mul_f32_dpp v182, v26, v182 row_newbcast:6 row_mask:0xf bank_mask:0xf// 0000000092E0: 0B6D6CFA FF01561A
	v_mul_f32_dpp v183, v26, v183 row_newbcast:7 row_mask:0xf bank_mask:0xf// 0000000092E8: 0B6F6EFA FF01571A
	v_mov_b32_e32 v4, v35                                      // 0000000092F0: 7E080323
	v_mov_b32_e32 v5, v4                                       // 0000000092F4: 7E0A0304
	v_pk_mul_f32 v[72:73], v[4:5], v[72:73]                    // 0000000092F8: D3B14048 18029104
	v_pk_mul_f32 v[128:129], v[4:5], v[128:129]                // 000000009300: D3B14080 18030104
	v_pk_mul_f32 v[74:75], v[4:5], v[74:75]                    // 000000009308: D3B1404A 18029504
	v_pk_mul_f32 v[130:131], v[4:5], v[130:131]                // 000000009310: D3B14082 18030504
	v_pk_mul_f32 v[100:101], v[4:5], v[100:101]                // 000000009318: D3B14064 1802C904
	v_pk_mul_f32 v[156:157], v[4:5], v[156:157]                // 000000009320: D3B1409C 18033904
	v_pk_mul_f32 v[102:103], v[4:5], v[102:103]                // 000000009328: D3B14066 1802CD04
	v_pk_mul_f32 v[158:159], v[4:5], v[158:159]                // 000000009330: D3B1409E 18033D04
	v_mov_b32_e32 v4, v36                                      // 000000009338: 7E080324
	v_mov_b32_e32 v5, v4                                       // 00000000933C: 7E0A0304
	v_pk_mul_f32 v[76:77], v[4:5], v[76:77]                    // 000000009340: D3B1404C 18029904
	v_pk_mul_f32 v[132:133], v[4:5], v[132:133]                // 000000009348: D3B14084 18030904
	v_pk_mul_f32 v[78:79], v[4:5], v[78:79]                    // 000000009350: D3B1404E 18029D04
	v_pk_mul_f32 v[134:135], v[4:5], v[134:135]                // 000000009358: D3B14086 18030D04
	v_pk_mul_f32 v[104:105], v[4:5], v[104:105]                // 000000009360: D3B14068 1802D104
	v_pk_mul_f32 v[160:161], v[4:5], v[160:161]                // 000000009368: D3B140A0 18034104
	v_pk_mul_f32 v[106:107], v[4:5], v[106:107]                // 000000009370: D3B1406A 1802D504
	v_pk_mul_f32 v[162:163], v[4:5], v[162:163]                // 000000009378: D3B140A2 18034504
	v_mov_b32_e32 v4, v37                                      // 000000009380: 7E080325
	v_mov_b32_e32 v5, v4                                       // 000000009384: 7E0A0304
	v_pk_mul_f32 v[80:81], v[4:5], v[80:81]                    // 000000009388: D3B14050 1802A104
	v_pk_mul_f32 v[136:137], v[4:5], v[136:137]                // 000000009390: D3B14088 18031104
	v_pk_mul_f32 v[82:83], v[4:5], v[82:83]                    // 000000009398: D3B14052 1802A504
	v_pk_mul_f32 v[138:139], v[4:5], v[138:139]                // 0000000093A0: D3B1408A 18031504
	v_pk_mul_f32 v[108:109], v[4:5], v[108:109]                // 0000000093A8: D3B1406C 1802D904
	v_pk_mul_f32 v[164:165], v[4:5], v[164:165]                // 0000000093B0: D3B140A4 18034904
	v_pk_mul_f32 v[110:111], v[4:5], v[110:111]                // 0000000093B8: D3B1406E 1802DD04
	v_pk_mul_f32 v[166:167], v[4:5], v[166:167]                // 0000000093C0: D3B140A6 18034D04
	v_mov_b32_e32 v4, v38                                      // 0000000093C8: 7E080326
	v_mov_b32_e32 v5, v4                                       // 0000000093CC: 7E0A0304
	v_pk_mul_f32 v[84:85], v[4:5], v[84:85]                    // 0000000093D0: D3B14054 1802A904
	v_pk_mul_f32 v[140:141], v[4:5], v[140:141]                // 0000000093D8: D3B1408C 18031904
	v_pk_mul_f32 v[86:87], v[4:5], v[86:87]                    // 0000000093E0: D3B14056 1802AD04
	v_pk_mul_f32 v[142:143], v[4:5], v[142:143]                // 0000000093E8: D3B1408E 18031D04
	v_pk_mul_f32 v[112:113], v[4:5], v[112:113]                // 0000000093F0: D3B14070 1802E104
	v_pk_mul_f32 v[168:169], v[4:5], v[168:169]                // 0000000093F8: D3B140A8 18035104
	v_pk_mul_f32 v[114:115], v[4:5], v[114:115]                // 000000009400: D3B14072 1802E504
	v_pk_mul_f32 v[170:171], v[4:5], v[170:171]                // 000000009408: D3B140AA 18035504
	v_mov_b32_e32 v4, v39                                      // 000000009410: 7E080327
	v_mov_b32_e32 v5, v4                                       // 000000009414: 7E0A0304
	v_pk_mul_f32 v[88:89], v[4:5], v[88:89]                    // 000000009418: D3B14058 1802B104
	v_pk_mul_f32 v[144:145], v[4:5], v[144:145]                // 000000009420: D3B14090 18032104
	v_pk_mul_f32 v[90:91], v[4:5], v[90:91]                    // 000000009428: D3B1405A 1802B504
	v_pk_mul_f32 v[146:147], v[4:5], v[146:147]                // 000000009430: D3B14092 18032504
	v_pk_mul_f32 v[116:117], v[4:5], v[116:117]                // 000000009438: D3B14074 1802E904
	v_pk_mul_f32 v[172:173], v[4:5], v[172:173]                // 000000009440: D3B140AC 18035904
	v_pk_mul_f32 v[118:119], v[4:5], v[118:119]                // 000000009448: D3B14076 1802ED04
	v_pk_mul_f32 v[174:175], v[4:5], v[174:175]                // 000000009450: D3B140AE 18035D04
	v_mov_b32_e32 v4, v40                                      // 000000009458: 7E080328
	v_mov_b32_e32 v5, v4                                       // 00000000945C: 7E0A0304
	v_pk_mul_f32 v[92:93], v[4:5], v[92:93]                    // 000000009460: D3B1405C 1802B904
	v_pk_mul_f32 v[148:149], v[4:5], v[148:149]                // 000000009468: D3B14094 18032904
	v_pk_mul_f32 v[94:95], v[4:5], v[94:95]                    // 000000009470: D3B1405E 1802BD04
	v_pk_mul_f32 v[150:151], v[4:5], v[150:151]                // 000000009478: D3B14096 18032D04
	v_pk_mul_f32 v[120:121], v[4:5], v[120:121]                // 000000009480: D3B14078 1802F104
	v_pk_mul_f32 v[176:177], v[4:5], v[176:177]                // 000000009488: D3B140B0 18036104
	v_pk_mul_f32 v[122:123], v[4:5], v[122:123]                // 000000009490: D3B1407A 1802F504
	v_pk_mul_f32 v[178:179], v[4:5], v[178:179]                // 000000009498: D3B140B2 18036504
	v_mov_b32_e32 v4, v41                                      // 0000000094A0: 7E080329
	v_mov_b32_e32 v5, v4                                       // 0000000094A4: 7E0A0304
	v_pk_mul_f32 v[96:97], v[4:5], v[96:97]                    // 0000000094A8: D3B14060 1802C104
	v_pk_mul_f32 v[152:153], v[4:5], v[152:153]                // 0000000094B0: D3B14098 18033104
	v_pk_mul_f32 v[98:99], v[4:5], v[98:99]                    // 0000000094B8: D3B14062 1802C504
	v_pk_mul_f32 v[154:155], v[4:5], v[154:155]                // 0000000094C0: D3B1409A 18033504
	v_pk_mul_f32 v[124:125], v[4:5], v[124:125]                // 0000000094C8: D3B1407C 1802F904
	v_pk_mul_f32 v[180:181], v[4:5], v[180:181]                // 0000000094D0: D3B140B4 18036904
	v_pk_mul_f32 v[126:127], v[4:5], v[126:127]                // 0000000094D8: D3B1407E 1802FD04
	v_pk_mul_f32 v[182:183], v[4:5], v[182:183]                // 0000000094E0: D3B140B6 18036D04
	s_cmp_eq_u32 s88, 0                                        // 0000000094E8: BF068058
	s_cbranch_scc0 label_22F8                                  // 0000000094EC: BF840839
	s_cmp_eq_u32 s89, 0                                        // 0000000094F0: BF068059
	s_cbranch_scc1 label_1CF6                                  // 0000000094F4: BF850235
	v_mov_b32_e32 v8, v1                                       // 0000000094F8: 7E100301
	v_mov_b32_e32 v9, v1                                       // 0000000094FC: 7E120301
	s_mov_b32 s60, s6                                          // 000000009500: BEBC0006
	s_mov_b32 s61, s6                                          // 000000009504: BEBD0006
	v_pk_mul_f32 v[4:5], v[72:73], v[72:73]                    // 000000009508: D3B14004 18029148
	v_pk_mul_f32 v[6:7], v[74:75], v[74:75]                    // 000000009510: D3B14006 1802954A
	v_pk_fma_f32 v[4:5], v[4:5], s[78:79], v[8:9]              // 000000009518: D3B04004 1C209D04
	v_pk_fma_f32 v[6:7], v[6:7], s[78:79], v[8:9]              // 000000009520: D3B04006 1C209D06
	v_pk_mul_f32 v[4:5], v[4:5], v[72:73]                      // 000000009528: D3B14004 18029104
	v_pk_mul_f32 v[6:7], v[6:7], v[74:75]                      // 000000009530: D3B14006 18029506
	v_pk_mul_f32 v[4:5], v[4:5], s[60:61]                      // 000000009538: D3B14004 18007904
	v_pk_mul_f32 v[6:7], v[6:7], s[60:61]                      // 000000009540: D3B14006 18007906
	v_exp_f32_e32 v4, v4                                       // 000000009548: 7E084104
	v_exp_f32_e32 v5, v5                                       // 00000000954C: 7E0A4105
	v_exp_f32_e32 v6, v6                                       // 000000009550: 7E0C4106
	v_exp_f32_e32 v7, v7                                       // 000000009554: 7E0E4107
	v_add_f32_e64 v4, v4, 1.0                                  // 000000009558: D1010004 0001E504
	v_add_f32_e64 v5, v5, 1.0                                  // 000000009560: D1010005 0001E505
	v_add_f32_e64 v6, v6, 1.0                                  // 000000009568: D1010006 0001E506
	v_add_f32_e64 v7, v7, 1.0                                  // 000000009570: D1010007 0001E507
	v_rcp_f32_e32 v4, v4                                       // 000000009578: 7E084504
	v_rcp_f32_e32 v5, v5                                       // 00000000957C: 7E0A4505
	v_rcp_f32_e32 v6, v6                                       // 000000009580: 7E0C4506
	v_rcp_f32_e32 v7, v7                                       // 000000009584: 7E0E4507
	v_mul_f32_e32 v72, v72, v4                                 // 000000009588: 0A900948
	v_mul_f32_e32 v73, v73, v5                                 // 00000000958C: 0A920B49
	v_mul_f32_e32 v74, v74, v6                                 // 000000009590: 0A940D4A
	v_mul_f32_e32 v75, v75, v7                                 // 000000009594: 0A960F4B
	v_mul_f32_e32 v72, v72, v128                               // 000000009598: 0A910148
	v_mul_f32_e32 v73, v73, v129                               // 00000000959C: 0A930349
	v_mul_f32_e32 v74, v74, v130                               // 0000000095A0: 0A95054A
	v_mul_f32_e32 v75, v75, v131                               // 0000000095A4: 0A97074B
	v_pk_mul_f32 v[4:5], v[76:77], v[76:77]                    // 0000000095A8: D3B14004 1802994C
	v_pk_mul_f32 v[6:7], v[78:79], v[78:79]                    // 0000000095B0: D3B14006 18029D4E
	v_pk_fma_f32 v[4:5], v[4:5], s[78:79], v[8:9]              // 0000000095B8: D3B04004 1C209D04
	v_pk_fma_f32 v[6:7], v[6:7], s[78:79], v[8:9]              // 0000000095C0: D3B04006 1C209D06
	v_pk_mul_f32 v[4:5], v[4:5], v[76:77]                      // 0000000095C8: D3B14004 18029904
	v_pk_mul_f32 v[6:7], v[6:7], v[78:79]                      // 0000000095D0: D3B14006 18029D06
	v_pk_mul_f32 v[4:5], v[4:5], s[60:61]                      // 0000000095D8: D3B14004 18007904
	v_pk_mul_f32 v[6:7], v[6:7], s[60:61]                      // 0000000095E0: D3B14006 18007906
	v_exp_f32_e32 v4, v4                                       // 0000000095E8: 7E084104
	v_exp_f32_e32 v5, v5                                       // 0000000095EC: 7E0A4105
	v_exp_f32_e32 v6, v6                                       // 0000000095F0: 7E0C4106
	v_exp_f32_e32 v7, v7                                       // 0000000095F4: 7E0E4107
	v_add_f32_e64 v4, v4, 1.0                                  // 0000000095F8: D1010004 0001E504
	v_add_f32_e64 v5, v5, 1.0                                  // 000000009600: D1010005 0001E505
	v_add_f32_e64 v6, v6, 1.0                                  // 000000009608: D1010006 0001E506
	v_add_f32_e64 v7, v7, 1.0                                  // 000000009610: D1010007 0001E507
	v_rcp_f32_e32 v4, v4                                       // 000000009618: 7E084504
	v_rcp_f32_e32 v5, v5                                       // 00000000961C: 7E0A4505
	v_rcp_f32_e32 v6, v6                                       // 000000009620: 7E0C4506
	v_rcp_f32_e32 v7, v7                                       // 000000009624: 7E0E4507
	v_mul_f32_e32 v76, v76, v4                                 // 000000009628: 0A98094C
	v_mul_f32_e32 v77, v77, v5                                 // 00000000962C: 0A9A0B4D
	v_mul_f32_e32 v78, v78, v6                                 // 000000009630: 0A9C0D4E
	v_mul_f32_e32 v79, v79, v7                                 // 000000009634: 0A9E0F4F
	v_mul_f32_e32 v76, v76, v132                               // 000000009638: 0A99094C
	v_mul_f32_e32 v77, v77, v133                               // 00000000963C: 0A9B0B4D
	v_mul_f32_e32 v78, v78, v134                               // 000000009640: 0A9D0D4E
	v_mul_f32_e32 v79, v79, v135                               // 000000009644: 0A9F0F4F
	v_pk_mul_f32 v[4:5], v[80:81], v[80:81]                    // 000000009648: D3B14004 1802A150
	v_pk_mul_f32 v[6:7], v[82:83], v[82:83]                    // 000000009650: D3B14006 1802A552
	v_pk_fma_f32 v[4:5], v[4:5], s[78:79], v[8:9]              // 000000009658: D3B04004 1C209D04
	v_pk_fma_f32 v[6:7], v[6:7], s[78:79], v[8:9]              // 000000009660: D3B04006 1C209D06
	v_pk_mul_f32 v[4:5], v[4:5], v[80:81]                      // 000000009668: D3B14004 1802A104
	v_pk_mul_f32 v[6:7], v[6:7], v[82:83]                      // 000000009670: D3B14006 1802A506
	v_pk_mul_f32 v[4:5], v[4:5], s[60:61]                      // 000000009678: D3B14004 18007904
	v_pk_mul_f32 v[6:7], v[6:7], s[60:61]                      // 000000009680: D3B14006 18007906
	v_exp_f32_e32 v4, v4                                       // 000000009688: 7E084104
	v_exp_f32_e32 v5, v5                                       // 00000000968C: 7E0A4105
	v_exp_f32_e32 v6, v6                                       // 000000009690: 7E0C4106
	v_exp_f32_e32 v7, v7                                       // 000000009694: 7E0E4107
	v_add_f32_e64 v4, v4, 1.0                                  // 000000009698: D1010004 0001E504
	v_add_f32_e64 v5, v5, 1.0                                  // 0000000096A0: D1010005 0001E505
	v_add_f32_e64 v6, v6, 1.0                                  // 0000000096A8: D1010006 0001E506
	v_add_f32_e64 v7, v7, 1.0                                  // 0000000096B0: D1010007 0001E507
	v_rcp_f32_e32 v4, v4                                       // 0000000096B8: 7E084504
	v_rcp_f32_e32 v5, v5                                       // 0000000096BC: 7E0A4505
	v_rcp_f32_e32 v6, v6                                       // 0000000096C0: 7E0C4506
	v_rcp_f32_e32 v7, v7                                       // 0000000096C4: 7E0E4507
	v_mul_f32_e32 v80, v80, v4                                 // 0000000096C8: 0AA00950
	v_mul_f32_e32 v81, v81, v5                                 // 0000000096CC: 0AA20B51
	v_mul_f32_e32 v82, v82, v6                                 // 0000000096D0: 0AA40D52
	v_mul_f32_e32 v83, v83, v7                                 // 0000000096D4: 0AA60F53
	v_mul_f32_e32 v80, v80, v136                               // 0000000096D8: 0AA11150
	v_mul_f32_e32 v81, v81, v137                               // 0000000096DC: 0AA31351
	v_mul_f32_e32 v82, v82, v138                               // 0000000096E0: 0AA51552
	v_mul_f32_e32 v83, v83, v139                               // 0000000096E4: 0AA71753
	v_pk_mul_f32 v[4:5], v[84:85], v[84:85]                    // 0000000096E8: D3B14004 1802A954
	v_pk_mul_f32 v[6:7], v[86:87], v[86:87]                    // 0000000096F0: D3B14006 1802AD56
	v_pk_fma_f32 v[4:5], v[4:5], s[78:79], v[8:9]              // 0000000096F8: D3B04004 1C209D04
	v_pk_fma_f32 v[6:7], v[6:7], s[78:79], v[8:9]              // 000000009700: D3B04006 1C209D06
	v_pk_mul_f32 v[4:5], v[4:5], v[84:85]                      // 000000009708: D3B14004 1802A904
	v_pk_mul_f32 v[6:7], v[6:7], v[86:87]                      // 000000009710: D3B14006 1802AD06
	v_pk_mul_f32 v[4:5], v[4:5], s[60:61]                      // 000000009718: D3B14004 18007904
	v_pk_mul_f32 v[6:7], v[6:7], s[60:61]                      // 000000009720: D3B14006 18007906
	v_exp_f32_e32 v4, v4                                       // 000000009728: 7E084104
	v_exp_f32_e32 v5, v5                                       // 00000000972C: 7E0A4105
	v_exp_f32_e32 v6, v6                                       // 000000009730: 7E0C4106
	v_exp_f32_e32 v7, v7                                       // 000000009734: 7E0E4107
	v_add_f32_e64 v4, v4, 1.0                                  // 000000009738: D1010004 0001E504
	v_add_f32_e64 v5, v5, 1.0                                  // 000000009740: D1010005 0001E505
	v_add_f32_e64 v6, v6, 1.0                                  // 000000009748: D1010006 0001E506
	v_add_f32_e64 v7, v7, 1.0                                  // 000000009750: D1010007 0001E507
	v_rcp_f32_e32 v4, v4                                       // 000000009758: 7E084504
	v_rcp_f32_e32 v5, v5                                       // 00000000975C: 7E0A4505
	v_rcp_f32_e32 v6, v6                                       // 000000009760: 7E0C4506
	v_rcp_f32_e32 v7, v7                                       // 000000009764: 7E0E4507
	v_mul_f32_e32 v84, v84, v4                                 // 000000009768: 0AA80954
	v_mul_f32_e32 v85, v85, v5                                 // 00000000976C: 0AAA0B55
	v_mul_f32_e32 v86, v86, v6                                 // 000000009770: 0AAC0D56
	v_mul_f32_e32 v87, v87, v7                                 // 000000009774: 0AAE0F57
	v_mul_f32_e32 v84, v84, v140                               // 000000009778: 0AA91954
	v_mul_f32_e32 v85, v85, v141                               // 00000000977C: 0AAB1B55
	v_mul_f32_e32 v86, v86, v142                               // 000000009780: 0AAD1D56
	v_mul_f32_e32 v87, v87, v143                               // 000000009784: 0AAF1F57
	v_pk_mul_f32 v[4:5], v[88:89], v[88:89]                    // 000000009788: D3B14004 1802B158
	v_pk_mul_f32 v[6:7], v[90:91], v[90:91]                    // 000000009790: D3B14006 1802B55A
	v_pk_fma_f32 v[4:5], v[4:5], s[78:79], v[8:9]              // 000000009798: D3B04004 1C209D04
	v_pk_fma_f32 v[6:7], v[6:7], s[78:79], v[8:9]              // 0000000097A0: D3B04006 1C209D06
	v_pk_mul_f32 v[4:5], v[4:5], v[88:89]                      // 0000000097A8: D3B14004 1802B104
	v_pk_mul_f32 v[6:7], v[6:7], v[90:91]                      // 0000000097B0: D3B14006 1802B506
	v_pk_mul_f32 v[4:5], v[4:5], s[60:61]                      // 0000000097B8: D3B14004 18007904
	v_pk_mul_f32 v[6:7], v[6:7], s[60:61]                      // 0000000097C0: D3B14006 18007906
	v_exp_f32_e32 v4, v4                                       // 0000000097C8: 7E084104
	v_exp_f32_e32 v5, v5                                       // 0000000097CC: 7E0A4105
	v_exp_f32_e32 v6, v6                                       // 0000000097D0: 7E0C4106
	v_exp_f32_e32 v7, v7                                       // 0000000097D4: 7E0E4107
	v_add_f32_e64 v4, v4, 1.0                                  // 0000000097D8: D1010004 0001E504
	v_add_f32_e64 v5, v5, 1.0                                  // 0000000097E0: D1010005 0001E505
	v_add_f32_e64 v6, v6, 1.0                                  // 0000000097E8: D1010006 0001E506
	v_add_f32_e64 v7, v7, 1.0                                  // 0000000097F0: D1010007 0001E507
	v_rcp_f32_e32 v4, v4                                       // 0000000097F8: 7E084504
	v_rcp_f32_e32 v5, v5                                       // 0000000097FC: 7E0A4505
	v_rcp_f32_e32 v6, v6                                       // 000000009800: 7E0C4506
	v_rcp_f32_e32 v7, v7                                       // 000000009804: 7E0E4507
	v_mul_f32_e32 v88, v88, v4                                 // 000000009808: 0AB00958
	v_mul_f32_e32 v89, v89, v5                                 // 00000000980C: 0AB20B59
	v_mul_f32_e32 v90, v90, v6                                 // 000000009810: 0AB40D5A
	v_mul_f32_e32 v91, v91, v7                                 // 000000009814: 0AB60F5B
	v_mul_f32_e32 v88, v88, v144                               // 000000009818: 0AB12158
	v_mul_f32_e32 v89, v89, v145                               // 00000000981C: 0AB32359
	v_mul_f32_e32 v90, v90, v146                               // 000000009820: 0AB5255A
	v_mul_f32_e32 v91, v91, v147                               // 000000009824: 0AB7275B
	v_pk_mul_f32 v[4:5], v[92:93], v[92:93]                    // 000000009828: D3B14004 1802B95C
	v_pk_mul_f32 v[6:7], v[94:95], v[94:95]                    // 000000009830: D3B14006 1802BD5E
	v_pk_fma_f32 v[4:5], v[4:5], s[78:79], v[8:9]              // 000000009838: D3B04004 1C209D04
	v_pk_fma_f32 v[6:7], v[6:7], s[78:79], v[8:9]              // 000000009840: D3B04006 1C209D06
	v_pk_mul_f32 v[4:5], v[4:5], v[92:93]                      // 000000009848: D3B14004 1802B904
	v_pk_mul_f32 v[6:7], v[6:7], v[94:95]                      // 000000009850: D3B14006 1802BD06
	v_pk_mul_f32 v[4:5], v[4:5], s[60:61]                      // 000000009858: D3B14004 18007904
	v_pk_mul_f32 v[6:7], v[6:7], s[60:61]                      // 000000009860: D3B14006 18007906
	v_exp_f32_e32 v4, v4                                       // 000000009868: 7E084104
	v_exp_f32_e32 v5, v5                                       // 00000000986C: 7E0A4105
	v_exp_f32_e32 v6, v6                                       // 000000009870: 7E0C4106
	v_exp_f32_e32 v7, v7                                       // 000000009874: 7E0E4107
	v_add_f32_e64 v4, v4, 1.0                                  // 000000009878: D1010004 0001E504
	v_add_f32_e64 v5, v5, 1.0                                  // 000000009880: D1010005 0001E505
	v_add_f32_e64 v6, v6, 1.0                                  // 000000009888: D1010006 0001E506
	v_add_f32_e64 v7, v7, 1.0                                  // 000000009890: D1010007 0001E507
	v_rcp_f32_e32 v4, v4                                       // 000000009898: 7E084504
	v_rcp_f32_e32 v5, v5                                       // 00000000989C: 7E0A4505
	v_rcp_f32_e32 v6, v6                                       // 0000000098A0: 7E0C4506
	v_rcp_f32_e32 v7, v7                                       // 0000000098A4: 7E0E4507
	v_mul_f32_e32 v92, v92, v4                                 // 0000000098A8: 0AB8095C
	v_mul_f32_e32 v93, v93, v5                                 // 0000000098AC: 0ABA0B5D
	v_mul_f32_e32 v94, v94, v6                                 // 0000000098B0: 0ABC0D5E
	v_mul_f32_e32 v95, v95, v7                                 // 0000000098B4: 0ABE0F5F
	v_mul_f32_e32 v92, v92, v148                               // 0000000098B8: 0AB9295C
	v_mul_f32_e32 v93, v93, v149                               // 0000000098BC: 0ABB2B5D
	v_mul_f32_e32 v94, v94, v150                               // 0000000098C0: 0ABD2D5E
	v_mul_f32_e32 v95, v95, v151                               // 0000000098C4: 0ABF2F5F
	v_pk_mul_f32 v[4:5], v[96:97], v[96:97]                    // 0000000098C8: D3B14004 1802C160
	v_pk_mul_f32 v[6:7], v[98:99], v[98:99]                    // 0000000098D0: D3B14006 1802C562
	v_pk_fma_f32 v[4:5], v[4:5], s[78:79], v[8:9]              // 0000000098D8: D3B04004 1C209D04
	v_pk_fma_f32 v[6:7], v[6:7], s[78:79], v[8:9]              // 0000000098E0: D3B04006 1C209D06
	v_pk_mul_f32 v[4:5], v[4:5], v[96:97]                      // 0000000098E8: D3B14004 1802C104
	v_pk_mul_f32 v[6:7], v[6:7], v[98:99]                      // 0000000098F0: D3B14006 1802C506
	v_pk_mul_f32 v[4:5], v[4:5], s[60:61]                      // 0000000098F8: D3B14004 18007904
	v_pk_mul_f32 v[6:7], v[6:7], s[60:61]                      // 000000009900: D3B14006 18007906
	v_exp_f32_e32 v4, v4                                       // 000000009908: 7E084104
	v_exp_f32_e32 v5, v5                                       // 00000000990C: 7E0A4105
	v_exp_f32_e32 v6, v6                                       // 000000009910: 7E0C4106
	v_exp_f32_e32 v7, v7                                       // 000000009914: 7E0E4107
	v_add_f32_e64 v4, v4, 1.0                                  // 000000009918: D1010004 0001E504
	v_add_f32_e64 v5, v5, 1.0                                  // 000000009920: D1010005 0001E505
	v_add_f32_e64 v6, v6, 1.0                                  // 000000009928: D1010006 0001E506
	v_add_f32_e64 v7, v7, 1.0                                  // 000000009930: D1010007 0001E507
	v_rcp_f32_e32 v4, v4                                       // 000000009938: 7E084504
	v_rcp_f32_e32 v5, v5                                       // 00000000993C: 7E0A4505
	v_rcp_f32_e32 v6, v6                                       // 000000009940: 7E0C4506
	v_rcp_f32_e32 v7, v7                                       // 000000009944: 7E0E4507
	v_mul_f32_e32 v96, v96, v4                                 // 000000009948: 0AC00960
	v_mul_f32_e32 v97, v97, v5                                 // 00000000994C: 0AC20B61
	v_mul_f32_e32 v98, v98, v6                                 // 000000009950: 0AC40D62
	v_mul_f32_e32 v99, v99, v7                                 // 000000009954: 0AC60F63
	v_mul_f32_e32 v96, v96, v152                               // 000000009958: 0AC13160
	v_mul_f32_e32 v97, v97, v153                               // 00000000995C: 0AC33361
	v_mul_f32_e32 v98, v98, v154                               // 000000009960: 0AC53562
	v_mul_f32_e32 v99, v99, v155                               // 000000009964: 0AC73763
	v_pk_mul_f32 v[4:5], v[100:101], v[100:101]                // 000000009968: D3B14004 1802C964
	v_pk_mul_f32 v[6:7], v[102:103], v[102:103]                // 000000009970: D3B14006 1802CD66
	v_pk_fma_f32 v[4:5], v[4:5], s[78:79], v[8:9]              // 000000009978: D3B04004 1C209D04
	v_pk_fma_f32 v[6:7], v[6:7], s[78:79], v[8:9]              // 000000009980: D3B04006 1C209D06
	v_pk_mul_f32 v[4:5], v[4:5], v[100:101]                    // 000000009988: D3B14004 1802C904
	v_pk_mul_f32 v[6:7], v[6:7], v[102:103]                    // 000000009990: D3B14006 1802CD06
	v_pk_mul_f32 v[4:5], v[4:5], s[60:61]                      // 000000009998: D3B14004 18007904
	v_pk_mul_f32 v[6:7], v[6:7], s[60:61]                      // 0000000099A0: D3B14006 18007906
	v_exp_f32_e32 v4, v4                                       // 0000000099A8: 7E084104
	v_exp_f32_e32 v5, v5                                       // 0000000099AC: 7E0A4105
	v_exp_f32_e32 v6, v6                                       // 0000000099B0: 7E0C4106
	v_exp_f32_e32 v7, v7                                       // 0000000099B4: 7E0E4107
	v_add_f32_e64 v4, v4, 1.0                                  // 0000000099B8: D1010004 0001E504
	v_add_f32_e64 v5, v5, 1.0                                  // 0000000099C0: D1010005 0001E505
	v_add_f32_e64 v6, v6, 1.0                                  // 0000000099C8: D1010006 0001E506
	v_add_f32_e64 v7, v7, 1.0                                  // 0000000099D0: D1010007 0001E507
	v_rcp_f32_e32 v4, v4                                       // 0000000099D8: 7E084504
	v_rcp_f32_e32 v5, v5                                       // 0000000099DC: 7E0A4505
	v_rcp_f32_e32 v6, v6                                       // 0000000099E0: 7E0C4506
	v_rcp_f32_e32 v7, v7                                       // 0000000099E4: 7E0E4507
	v_mul_f32_e32 v100, v100, v4                               // 0000000099E8: 0AC80964
	v_mul_f32_e32 v101, v101, v5                               // 0000000099EC: 0ACA0B65
	v_mul_f32_e32 v102, v102, v6                               // 0000000099F0: 0ACC0D66
	v_mul_f32_e32 v103, v103, v7                               // 0000000099F4: 0ACE0F67
	v_mul_f32_e32 v100, v100, v156                             // 0000000099F8: 0AC93964
	v_mul_f32_e32 v101, v101, v157                             // 0000000099FC: 0ACB3B65
	v_mul_f32_e32 v102, v102, v158                             // 000000009A00: 0ACD3D66
	v_mul_f32_e32 v103, v103, v159                             // 000000009A04: 0ACF3F67
	v_pk_mul_f32 v[4:5], v[104:105], v[104:105]                // 000000009A08: D3B14004 1802D168
	v_pk_mul_f32 v[6:7], v[106:107], v[106:107]                // 000000009A10: D3B14006 1802D56A
	v_pk_fma_f32 v[4:5], v[4:5], s[78:79], v[8:9]              // 000000009A18: D3B04004 1C209D04
	v_pk_fma_f32 v[6:7], v[6:7], s[78:79], v[8:9]              // 000000009A20: D3B04006 1C209D06
	v_pk_mul_f32 v[4:5], v[4:5], v[104:105]                    // 000000009A28: D3B14004 1802D104
	v_pk_mul_f32 v[6:7], v[6:7], v[106:107]                    // 000000009A30: D3B14006 1802D506
	v_pk_mul_f32 v[4:5], v[4:5], s[60:61]                      // 000000009A38: D3B14004 18007904
	v_pk_mul_f32 v[6:7], v[6:7], s[60:61]                      // 000000009A40: D3B14006 18007906
	v_exp_f32_e32 v4, v4                                       // 000000009A48: 7E084104
	v_exp_f32_e32 v5, v5                                       // 000000009A4C: 7E0A4105
	v_exp_f32_e32 v6, v6                                       // 000000009A50: 7E0C4106
	v_exp_f32_e32 v7, v7                                       // 000000009A54: 7E0E4107
	v_add_f32_e64 v4, v4, 1.0                                  // 000000009A58: D1010004 0001E504
	v_add_f32_e64 v5, v5, 1.0                                  // 000000009A60: D1010005 0001E505
	v_add_f32_e64 v6, v6, 1.0                                  // 000000009A68: D1010006 0001E506
	v_add_f32_e64 v7, v7, 1.0                                  // 000000009A70: D1010007 0001E507
	v_rcp_f32_e32 v4, v4                                       // 000000009A78: 7E084504
	v_rcp_f32_e32 v5, v5                                       // 000000009A7C: 7E0A4505
	v_rcp_f32_e32 v6, v6                                       // 000000009A80: 7E0C4506
	v_rcp_f32_e32 v7, v7                                       // 000000009A84: 7E0E4507
	v_mul_f32_e32 v104, v104, v4                               // 000000009A88: 0AD00968
	v_mul_f32_e32 v105, v105, v5                               // 000000009A8C: 0AD20B69
	v_mul_f32_e32 v106, v106, v6                               // 000000009A90: 0AD40D6A
	v_mul_f32_e32 v107, v107, v7                               // 000000009A94: 0AD60F6B
	v_mul_f32_e32 v104, v104, v160                             // 000000009A98: 0AD14168
	v_mul_f32_e32 v105, v105, v161                             // 000000009A9C: 0AD34369
	v_mul_f32_e32 v106, v106, v162                             // 000000009AA0: 0AD5456A
	v_mul_f32_e32 v107, v107, v163                             // 000000009AA4: 0AD7476B
	v_pk_mul_f32 v[4:5], v[108:109], v[108:109]                // 000000009AA8: D3B14004 1802D96C
	v_pk_mul_f32 v[6:7], v[110:111], v[110:111]                // 000000009AB0: D3B14006 1802DD6E
	v_pk_fma_f32 v[4:5], v[4:5], s[78:79], v[8:9]              // 000000009AB8: D3B04004 1C209D04
	v_pk_fma_f32 v[6:7], v[6:7], s[78:79], v[8:9]              // 000000009AC0: D3B04006 1C209D06
	v_pk_mul_f32 v[4:5], v[4:5], v[108:109]                    // 000000009AC8: D3B14004 1802D904
	v_pk_mul_f32 v[6:7], v[6:7], v[110:111]                    // 000000009AD0: D3B14006 1802DD06
	v_pk_mul_f32 v[4:5], v[4:5], s[60:61]                      // 000000009AD8: D3B14004 18007904
	v_pk_mul_f32 v[6:7], v[6:7], s[60:61]                      // 000000009AE0: D3B14006 18007906
	v_exp_f32_e32 v4, v4                                       // 000000009AE8: 7E084104
	v_exp_f32_e32 v5, v5                                       // 000000009AEC: 7E0A4105
	v_exp_f32_e32 v6, v6                                       // 000000009AF0: 7E0C4106
	v_exp_f32_e32 v7, v7                                       // 000000009AF4: 7E0E4107
	v_add_f32_e64 v4, v4, 1.0                                  // 000000009AF8: D1010004 0001E504
	v_add_f32_e64 v5, v5, 1.0                                  // 000000009B00: D1010005 0001E505
	v_add_f32_e64 v6, v6, 1.0                                  // 000000009B08: D1010006 0001E506
	v_add_f32_e64 v7, v7, 1.0                                  // 000000009B10: D1010007 0001E507
	v_rcp_f32_e32 v4, v4                                       // 000000009B18: 7E084504
	v_rcp_f32_e32 v5, v5                                       // 000000009B1C: 7E0A4505
	v_rcp_f32_e32 v6, v6                                       // 000000009B20: 7E0C4506
	v_rcp_f32_e32 v7, v7                                       // 000000009B24: 7E0E4507
	v_mul_f32_e32 v108, v108, v4                               // 000000009B28: 0AD8096C
	v_mul_f32_e32 v109, v109, v5                               // 000000009B2C: 0ADA0B6D
	v_mul_f32_e32 v110, v110, v6                               // 000000009B30: 0ADC0D6E
	v_mul_f32_e32 v111, v111, v7                               // 000000009B34: 0ADE0F6F
	v_mul_f32_e32 v108, v108, v164                             // 000000009B38: 0AD9496C
	v_mul_f32_e32 v109, v109, v165                             // 000000009B3C: 0ADB4B6D
	v_mul_f32_e32 v110, v110, v166                             // 000000009B40: 0ADD4D6E
	v_mul_f32_e32 v111, v111, v167                             // 000000009B44: 0ADF4F6F
	v_pk_mul_f32 v[4:5], v[112:113], v[112:113]                // 000000009B48: D3B14004 1802E170
	v_pk_mul_f32 v[6:7], v[114:115], v[114:115]                // 000000009B50: D3B14006 1802E572
	v_pk_fma_f32 v[4:5], v[4:5], s[78:79], v[8:9]              // 000000009B58: D3B04004 1C209D04
	v_pk_fma_f32 v[6:7], v[6:7], s[78:79], v[8:9]              // 000000009B60: D3B04006 1C209D06
	v_pk_mul_f32 v[4:5], v[4:5], v[112:113]                    // 000000009B68: D3B14004 1802E104
	v_pk_mul_f32 v[6:7], v[6:7], v[114:115]                    // 000000009B70: D3B14006 1802E506
	v_pk_mul_f32 v[4:5], v[4:5], s[60:61]                      // 000000009B78: D3B14004 18007904
	v_pk_mul_f32 v[6:7], v[6:7], s[60:61]                      // 000000009B80: D3B14006 18007906
	v_exp_f32_e32 v4, v4                                       // 000000009B88: 7E084104
	v_exp_f32_e32 v5, v5                                       // 000000009B8C: 7E0A4105
	v_exp_f32_e32 v6, v6                                       // 000000009B90: 7E0C4106
	v_exp_f32_e32 v7, v7                                       // 000000009B94: 7E0E4107
	v_add_f32_e64 v4, v4, 1.0                                  // 000000009B98: D1010004 0001E504
	v_add_f32_e64 v5, v5, 1.0                                  // 000000009BA0: D1010005 0001E505
	v_add_f32_e64 v6, v6, 1.0                                  // 000000009BA8: D1010006 0001E506
	v_add_f32_e64 v7, v7, 1.0                                  // 000000009BB0: D1010007 0001E507
	v_rcp_f32_e32 v4, v4                                       // 000000009BB8: 7E084504
	v_rcp_f32_e32 v5, v5                                       // 000000009BBC: 7E0A4505
	v_rcp_f32_e32 v6, v6                                       // 000000009BC0: 7E0C4506
	v_rcp_f32_e32 v7, v7                                       // 000000009BC4: 7E0E4507
	v_mul_f32_e32 v112, v112, v4                               // 000000009BC8: 0AE00970
	v_mul_f32_e32 v113, v113, v5                               // 000000009BCC: 0AE20B71
	v_mul_f32_e32 v114, v114, v6                               // 000000009BD0: 0AE40D72
	v_mul_f32_e32 v115, v115, v7                               // 000000009BD4: 0AE60F73
	v_mul_f32_e32 v112, v112, v168                             // 000000009BD8: 0AE15170
	v_mul_f32_e32 v113, v113, v169                             // 000000009BDC: 0AE35371
	v_mul_f32_e32 v114, v114, v170                             // 000000009BE0: 0AE55572
	v_mul_f32_e32 v115, v115, v171                             // 000000009BE4: 0AE75773
	v_pk_mul_f32 v[4:5], v[116:117], v[116:117]                // 000000009BE8: D3B14004 1802E974
	v_pk_mul_f32 v[6:7], v[118:119], v[118:119]                // 000000009BF0: D3B14006 1802ED76
	v_pk_fma_f32 v[4:5], v[4:5], s[78:79], v[8:9]              // 000000009BF8: D3B04004 1C209D04
	v_pk_fma_f32 v[6:7], v[6:7], s[78:79], v[8:9]              // 000000009C00: D3B04006 1C209D06
	v_pk_mul_f32 v[4:5], v[4:5], v[116:117]                    // 000000009C08: D3B14004 1802E904
	v_pk_mul_f32 v[6:7], v[6:7], v[118:119]                    // 000000009C10: D3B14006 1802ED06
	v_pk_mul_f32 v[4:5], v[4:5], s[60:61]                      // 000000009C18: D3B14004 18007904
	v_pk_mul_f32 v[6:7], v[6:7], s[60:61]                      // 000000009C20: D3B14006 18007906
	v_exp_f32_e32 v4, v4                                       // 000000009C28: 7E084104
	v_exp_f32_e32 v5, v5                                       // 000000009C2C: 7E0A4105
	v_exp_f32_e32 v6, v6                                       // 000000009C30: 7E0C4106
	v_exp_f32_e32 v7, v7                                       // 000000009C34: 7E0E4107
	v_add_f32_e64 v4, v4, 1.0                                  // 000000009C38: D1010004 0001E504
	v_add_f32_e64 v5, v5, 1.0                                  // 000000009C40: D1010005 0001E505
	v_add_f32_e64 v6, v6, 1.0                                  // 000000009C48: D1010006 0001E506
	v_add_f32_e64 v7, v7, 1.0                                  // 000000009C50: D1010007 0001E507
	v_rcp_f32_e32 v4, v4                                       // 000000009C58: 7E084504
	v_rcp_f32_e32 v5, v5                                       // 000000009C5C: 7E0A4505
	v_rcp_f32_e32 v6, v6                                       // 000000009C60: 7E0C4506
	v_rcp_f32_e32 v7, v7                                       // 000000009C64: 7E0E4507
	v_mul_f32_e32 v116, v116, v4                               // 000000009C68: 0AE80974
	v_mul_f32_e32 v117, v117, v5                               // 000000009C6C: 0AEA0B75
	v_mul_f32_e32 v118, v118, v6                               // 000000009C70: 0AEC0D76
	v_mul_f32_e32 v119, v119, v7                               // 000000009C74: 0AEE0F77
	v_mul_f32_e32 v116, v116, v172                             // 000000009C78: 0AE95974
	v_mul_f32_e32 v117, v117, v173                             // 000000009C7C: 0AEB5B75
	v_mul_f32_e32 v118, v118, v174                             // 000000009C80: 0AED5D76
	v_mul_f32_e32 v119, v119, v175                             // 000000009C84: 0AEF5F77
	v_pk_mul_f32 v[4:5], v[120:121], v[120:121]                // 000000009C88: D3B14004 1802F178
	v_pk_mul_f32 v[6:7], v[122:123], v[122:123]                // 000000009C90: D3B14006 1802F57A
	v_pk_fma_f32 v[4:5], v[4:5], s[78:79], v[8:9]              // 000000009C98: D3B04004 1C209D04
	v_pk_fma_f32 v[6:7], v[6:7], s[78:79], v[8:9]              // 000000009CA0: D3B04006 1C209D06
	v_pk_mul_f32 v[4:5], v[4:5], v[120:121]                    // 000000009CA8: D3B14004 1802F104
	v_pk_mul_f32 v[6:7], v[6:7], v[122:123]                    // 000000009CB0: D3B14006 1802F506
	v_pk_mul_f32 v[4:5], v[4:5], s[60:61]                      // 000000009CB8: D3B14004 18007904
	v_pk_mul_f32 v[6:7], v[6:7], s[60:61]                      // 000000009CC0: D3B14006 18007906
	v_exp_f32_e32 v4, v4                                       // 000000009CC8: 7E084104
	v_exp_f32_e32 v5, v5                                       // 000000009CCC: 7E0A4105
	v_exp_f32_e32 v6, v6                                       // 000000009CD0: 7E0C4106
	v_exp_f32_e32 v7, v7                                       // 000000009CD4: 7E0E4107
	v_add_f32_e64 v4, v4, 1.0                                  // 000000009CD8: D1010004 0001E504
	v_add_f32_e64 v5, v5, 1.0                                  // 000000009CE0: D1010005 0001E505
	v_add_f32_e64 v6, v6, 1.0                                  // 000000009CE8: D1010006 0001E506
	v_add_f32_e64 v7, v7, 1.0                                  // 000000009CF0: D1010007 0001E507
	v_rcp_f32_e32 v4, v4                                       // 000000009CF8: 7E084504
	v_rcp_f32_e32 v5, v5                                       // 000000009CFC: 7E0A4505
	v_rcp_f32_e32 v6, v6                                       // 000000009D00: 7E0C4506
	v_rcp_f32_e32 v7, v7                                       // 000000009D04: 7E0E4507
	v_mul_f32_e32 v120, v120, v4                               // 000000009D08: 0AF00978
	v_mul_f32_e32 v121, v121, v5                               // 000000009D0C: 0AF20B79
	v_mul_f32_e32 v122, v122, v6                               // 000000009D10: 0AF40D7A
	v_mul_f32_e32 v123, v123, v7                               // 000000009D14: 0AF60F7B
	v_mul_f32_e32 v120, v120, v176                             // 000000009D18: 0AF16178
	v_mul_f32_e32 v121, v121, v177                             // 000000009D1C: 0AF36379
	v_mul_f32_e32 v122, v122, v178                             // 000000009D20: 0AF5657A
	v_mul_f32_e32 v123, v123, v179                             // 000000009D24: 0AF7677B
	v_pk_mul_f32 v[4:5], v[124:125], v[124:125]                // 000000009D28: D3B14004 1802F97C
	v_pk_mul_f32 v[6:7], v[126:127], v[126:127]                // 000000009D30: D3B14006 1802FD7E
	v_pk_fma_f32 v[4:5], v[4:5], s[78:79], v[8:9]              // 000000009D38: D3B04004 1C209D04
	v_pk_fma_f32 v[6:7], v[6:7], s[78:79], v[8:9]              // 000000009D40: D3B04006 1C209D06
	v_pk_mul_f32 v[4:5], v[4:5], v[124:125]                    // 000000009D48: D3B14004 1802F904
	v_pk_mul_f32 v[6:7], v[6:7], v[126:127]                    // 000000009D50: D3B14006 1802FD06
	v_pk_mul_f32 v[4:5], v[4:5], s[60:61]                      // 000000009D58: D3B14004 18007904
	v_pk_mul_f32 v[6:7], v[6:7], s[60:61]                      // 000000009D60: D3B14006 18007906
	v_exp_f32_e32 v4, v4                                       // 000000009D68: 7E084104
	v_exp_f32_e32 v5, v5                                       // 000000009D6C: 7E0A4105
	v_exp_f32_e32 v6, v6                                       // 000000009D70: 7E0C4106
	v_exp_f32_e32 v7, v7                                       // 000000009D74: 7E0E4107
	v_add_f32_e64 v4, v4, 1.0                                  // 000000009D78: D1010004 0001E504
	v_add_f32_e64 v5, v5, 1.0                                  // 000000009D80: D1010005 0001E505
	v_add_f32_e64 v6, v6, 1.0                                  // 000000009D88: D1010006 0001E506
	v_add_f32_e64 v7, v7, 1.0                                  // 000000009D90: D1010007 0001E507
	v_rcp_f32_e32 v4, v4                                       // 000000009D98: 7E084504
	v_rcp_f32_e32 v5, v5                                       // 000000009D9C: 7E0A4505
	v_rcp_f32_e32 v6, v6                                       // 000000009DA0: 7E0C4506
	v_rcp_f32_e32 v7, v7                                       // 000000009DA4: 7E0E4507
	v_mul_f32_e32 v124, v124, v4                               // 000000009DA8: 0AF8097C
	v_mul_f32_e32 v125, v125, v5                               // 000000009DAC: 0AFA0B7D
	v_mul_f32_e32 v126, v126, v6                               // 000000009DB0: 0AFC0D7E
	v_mul_f32_e32 v127, v127, v7                               // 000000009DB4: 0AFE0F7F
	v_mul_f32_e32 v124, v124, v180                             // 000000009DB8: 0AF9697C
	v_mul_f32_e32 v125, v125, v181                             // 000000009DBC: 0AFB6B7D
	v_mul_f32_e32 v126, v126, v182                             // 000000009DC0: 0AFD6D7E
	v_mul_f32_e32 v127, v127, v183                             // 000000009DC4: 0AFF6F7F
	s_branch label_1EB6                                        // 000000009DC8: BF8201C0

0000000000009dcc <label_1CF6>:
	v_mul_f32_e64 v4, -v72, s6                                 // 000000009DCC: D1050004 20000D48
	v_mul_f32_e64 v5, -v73, s6                                 // 000000009DD4: D1050005 20000D49
	v_mul_f32_e64 v6, -v74, s6                                 // 000000009DDC: D1050006 20000D4A
	v_mul_f32_e64 v7, -v75, s6                                 // 000000009DE4: D1050007 20000D4B
	v_exp_f32_e32 v4, v4                                       // 000000009DEC: 7E084104
	v_exp_f32_e32 v5, v5                                       // 000000009DF0: 7E0A4105
	v_exp_f32_e32 v6, v6                                       // 000000009DF4: 7E0C4106
	v_exp_f32_e32 v7, v7                                       // 000000009DF8: 7E0E4107
	v_add_f32_e64 v4, v4, 1.0                                  // 000000009DFC: D1010004 0001E504
	v_add_f32_e64 v5, v5, 1.0                                  // 000000009E04: D1010005 0001E505
	v_add_f32_e64 v6, v6, 1.0                                  // 000000009E0C: D1010006 0001E506
	v_add_f32_e64 v7, v7, 1.0                                  // 000000009E14: D1010007 0001E507
	v_rcp_f32_e32 v4, v4                                       // 000000009E1C: 7E084504
	v_rcp_f32_e32 v5, v5                                       // 000000009E20: 7E0A4505
	v_rcp_f32_e32 v6, v6                                       // 000000009E24: 7E0C4506
	v_rcp_f32_e32 v7, v7                                       // 000000009E28: 7E0E4507
	v_mul_f32_e32 v72, v72, v4                                 // 000000009E2C: 0A900948
	v_mul_f32_e32 v73, v73, v5                                 // 000000009E30: 0A920B49
	v_mul_f32_e32 v74, v74, v6                                 // 000000009E34: 0A940D4A
	v_mul_f32_e32 v75, v75, v7                                 // 000000009E38: 0A960F4B
	v_mul_f32_e32 v72, v72, v128                               // 000000009E3C: 0A910148
	v_mul_f32_e32 v73, v73, v129                               // 000000009E40: 0A930349
	v_mul_f32_e32 v74, v74, v130                               // 000000009E44: 0A95054A
	v_mul_f32_e32 v75, v75, v131                               // 000000009E48: 0A97074B
	v_mul_f32_e64 v4, -v76, s6                                 // 000000009E4C: D1050004 20000D4C
	v_mul_f32_e64 v5, -v77, s6                                 // 000000009E54: D1050005 20000D4D
	v_mul_f32_e64 v6, -v78, s6                                 // 000000009E5C: D1050006 20000D4E
	v_mul_f32_e64 v7, -v79, s6                                 // 000000009E64: D1050007 20000D4F
	v_exp_f32_e32 v4, v4                                       // 000000009E6C: 7E084104
	v_exp_f32_e32 v5, v5                                       // 000000009E70: 7E0A4105
	v_exp_f32_e32 v6, v6                                       // 000000009E74: 7E0C4106
	v_exp_f32_e32 v7, v7                                       // 000000009E78: 7E0E4107
	v_add_f32_e64 v4, v4, 1.0                                  // 000000009E7C: D1010004 0001E504
	v_add_f32_e64 v5, v5, 1.0                                  // 000000009E84: D1010005 0001E505
	v_add_f32_e64 v6, v6, 1.0                                  // 000000009E8C: D1010006 0001E506
	v_add_f32_e64 v7, v7, 1.0                                  // 000000009E94: D1010007 0001E507
	v_rcp_f32_e32 v4, v4                                       // 000000009E9C: 7E084504
	v_rcp_f32_e32 v5, v5                                       // 000000009EA0: 7E0A4505
	v_rcp_f32_e32 v6, v6                                       // 000000009EA4: 7E0C4506
	v_rcp_f32_e32 v7, v7                                       // 000000009EA8: 7E0E4507
	v_mul_f32_e32 v76, v76, v4                                 // 000000009EAC: 0A98094C
	v_mul_f32_e32 v77, v77, v5                                 // 000000009EB0: 0A9A0B4D
	v_mul_f32_e32 v78, v78, v6                                 // 000000009EB4: 0A9C0D4E
	v_mul_f32_e32 v79, v79, v7                                 // 000000009EB8: 0A9E0F4F
	v_mul_f32_e32 v76, v76, v132                               // 000000009EBC: 0A99094C
	v_mul_f32_e32 v77, v77, v133                               // 000000009EC0: 0A9B0B4D
	v_mul_f32_e32 v78, v78, v134                               // 000000009EC4: 0A9D0D4E
	v_mul_f32_e32 v79, v79, v135                               // 000000009EC8: 0A9F0F4F
	v_mul_f32_e64 v4, -v80, s6                                 // 000000009ECC: D1050004 20000D50
	v_mul_f32_e64 v5, -v81, s6                                 // 000000009ED4: D1050005 20000D51
	v_mul_f32_e64 v6, -v82, s6                                 // 000000009EDC: D1050006 20000D52
	v_mul_f32_e64 v7, -v83, s6                                 // 000000009EE4: D1050007 20000D53
	v_exp_f32_e32 v4, v4                                       // 000000009EEC: 7E084104
	v_exp_f32_e32 v5, v5                                       // 000000009EF0: 7E0A4105
	v_exp_f32_e32 v6, v6                                       // 000000009EF4: 7E0C4106
	v_exp_f32_e32 v7, v7                                       // 000000009EF8: 7E0E4107
	v_add_f32_e64 v4, v4, 1.0                                  // 000000009EFC: D1010004 0001E504
	v_add_f32_e64 v5, v5, 1.0                                  // 000000009F04: D1010005 0001E505
	v_add_f32_e64 v6, v6, 1.0                                  // 000000009F0C: D1010006 0001E506
	v_add_f32_e64 v7, v7, 1.0                                  // 000000009F14: D1010007 0001E507
	v_rcp_f32_e32 v4, v4                                       // 000000009F1C: 7E084504
	v_rcp_f32_e32 v5, v5                                       // 000000009F20: 7E0A4505
	v_rcp_f32_e32 v6, v6                                       // 000000009F24: 7E0C4506
	v_rcp_f32_e32 v7, v7                                       // 000000009F28: 7E0E4507
	v_mul_f32_e32 v80, v80, v4                                 // 000000009F2C: 0AA00950
	v_mul_f32_e32 v81, v81, v5                                 // 000000009F30: 0AA20B51
	v_mul_f32_e32 v82, v82, v6                                 // 000000009F34: 0AA40D52
	v_mul_f32_e32 v83, v83, v7                                 // 000000009F38: 0AA60F53
	v_mul_f32_e32 v80, v80, v136                               // 000000009F3C: 0AA11150
	v_mul_f32_e32 v81, v81, v137                               // 000000009F40: 0AA31351
	v_mul_f32_e32 v82, v82, v138                               // 000000009F44: 0AA51552
	v_mul_f32_e32 v83, v83, v139                               // 000000009F48: 0AA71753
	v_mul_f32_e64 v4, -v84, s6                                 // 000000009F4C: D1050004 20000D54
	v_mul_f32_e64 v5, -v85, s6                                 // 000000009F54: D1050005 20000D55
	v_mul_f32_e64 v6, -v86, s6                                 // 000000009F5C: D1050006 20000D56
	v_mul_f32_e64 v7, -v87, s6                                 // 000000009F64: D1050007 20000D57
	v_exp_f32_e32 v4, v4                                       // 000000009F6C: 7E084104
	v_exp_f32_e32 v5, v5                                       // 000000009F70: 7E0A4105
	v_exp_f32_e32 v6, v6                                       // 000000009F74: 7E0C4106
	v_exp_f32_e32 v7, v7                                       // 000000009F78: 7E0E4107
	v_add_f32_e64 v4, v4, 1.0                                  // 000000009F7C: D1010004 0001E504
	v_add_f32_e64 v5, v5, 1.0                                  // 000000009F84: D1010005 0001E505
	v_add_f32_e64 v6, v6, 1.0                                  // 000000009F8C: D1010006 0001E506
	v_add_f32_e64 v7, v7, 1.0                                  // 000000009F94: D1010007 0001E507
	v_rcp_f32_e32 v4, v4                                       // 000000009F9C: 7E084504
	v_rcp_f32_e32 v5, v5                                       // 000000009FA0: 7E0A4505
	v_rcp_f32_e32 v6, v6                                       // 000000009FA4: 7E0C4506
	v_rcp_f32_e32 v7, v7                                       // 000000009FA8: 7E0E4507
	v_mul_f32_e32 v84, v84, v4                                 // 000000009FAC: 0AA80954
	v_mul_f32_e32 v85, v85, v5                                 // 000000009FB0: 0AAA0B55
	v_mul_f32_e32 v86, v86, v6                                 // 000000009FB4: 0AAC0D56
	v_mul_f32_e32 v87, v87, v7                                 // 000000009FB8: 0AAE0F57
	v_mul_f32_e32 v84, v84, v140                               // 000000009FBC: 0AA91954
	v_mul_f32_e32 v85, v85, v141                               // 000000009FC0: 0AAB1B55
	v_mul_f32_e32 v86, v86, v142                               // 000000009FC4: 0AAD1D56
	v_mul_f32_e32 v87, v87, v143                               // 000000009FC8: 0AAF1F57
	v_mul_f32_e64 v4, -v88, s6                                 // 000000009FCC: D1050004 20000D58
	v_mul_f32_e64 v5, -v89, s6                                 // 000000009FD4: D1050005 20000D59
	v_mul_f32_e64 v6, -v90, s6                                 // 000000009FDC: D1050006 20000D5A
	v_mul_f32_e64 v7, -v91, s6                                 // 000000009FE4: D1050007 20000D5B
	v_exp_f32_e32 v4, v4                                       // 000000009FEC: 7E084104
	v_exp_f32_e32 v5, v5                                       // 000000009FF0: 7E0A4105
	v_exp_f32_e32 v6, v6                                       // 000000009FF4: 7E0C4106
	v_exp_f32_e32 v7, v7                                       // 000000009FF8: 7E0E4107
	v_add_f32_e64 v4, v4, 1.0                                  // 000000009FFC: D1010004 0001E504
	v_add_f32_e64 v5, v5, 1.0                                  // 00000000A004: D1010005 0001E505
	v_add_f32_e64 v6, v6, 1.0                                  // 00000000A00C: D1010006 0001E506
	v_add_f32_e64 v7, v7, 1.0                                  // 00000000A014: D1010007 0001E507
	v_rcp_f32_e32 v4, v4                                       // 00000000A01C: 7E084504
	v_rcp_f32_e32 v5, v5                                       // 00000000A020: 7E0A4505
	v_rcp_f32_e32 v6, v6                                       // 00000000A024: 7E0C4506
	v_rcp_f32_e32 v7, v7                                       // 00000000A028: 7E0E4507
	v_mul_f32_e32 v88, v88, v4                                 // 00000000A02C: 0AB00958
	v_mul_f32_e32 v89, v89, v5                                 // 00000000A030: 0AB20B59
	v_mul_f32_e32 v90, v90, v6                                 // 00000000A034: 0AB40D5A
	v_mul_f32_e32 v91, v91, v7                                 // 00000000A038: 0AB60F5B
	v_mul_f32_e32 v88, v88, v144                               // 00000000A03C: 0AB12158
	v_mul_f32_e32 v89, v89, v145                               // 00000000A040: 0AB32359
	v_mul_f32_e32 v90, v90, v146                               // 00000000A044: 0AB5255A
	v_mul_f32_e32 v91, v91, v147                               // 00000000A048: 0AB7275B
	v_mul_f32_e64 v4, -v92, s6                                 // 00000000A04C: D1050004 20000D5C
	v_mul_f32_e64 v5, -v93, s6                                 // 00000000A054: D1050005 20000D5D
	v_mul_f32_e64 v6, -v94, s6                                 // 00000000A05C: D1050006 20000D5E
	v_mul_f32_e64 v7, -v95, s6                                 // 00000000A064: D1050007 20000D5F
	v_exp_f32_e32 v4, v4                                       // 00000000A06C: 7E084104
	v_exp_f32_e32 v5, v5                                       // 00000000A070: 7E0A4105
	v_exp_f32_e32 v6, v6                                       // 00000000A074: 7E0C4106
	v_exp_f32_e32 v7, v7                                       // 00000000A078: 7E0E4107
	v_add_f32_e64 v4, v4, 1.0                                  // 00000000A07C: D1010004 0001E504
	v_add_f32_e64 v5, v5, 1.0                                  // 00000000A084: D1010005 0001E505
	v_add_f32_e64 v6, v6, 1.0                                  // 00000000A08C: D1010006 0001E506
	v_add_f32_e64 v7, v7, 1.0                                  // 00000000A094: D1010007 0001E507
	v_rcp_f32_e32 v4, v4                                       // 00000000A09C: 7E084504
	v_rcp_f32_e32 v5, v5                                       // 00000000A0A0: 7E0A4505
	v_rcp_f32_e32 v6, v6                                       // 00000000A0A4: 7E0C4506
	v_rcp_f32_e32 v7, v7                                       // 00000000A0A8: 7E0E4507
	v_mul_f32_e32 v92, v92, v4                                 // 00000000A0AC: 0AB8095C
	v_mul_f32_e32 v93, v93, v5                                 // 00000000A0B0: 0ABA0B5D
	v_mul_f32_e32 v94, v94, v6                                 // 00000000A0B4: 0ABC0D5E
	v_mul_f32_e32 v95, v95, v7                                 // 00000000A0B8: 0ABE0F5F
	v_mul_f32_e32 v92, v92, v148                               // 00000000A0BC: 0AB9295C
	v_mul_f32_e32 v93, v93, v149                               // 00000000A0C0: 0ABB2B5D
	v_mul_f32_e32 v94, v94, v150                               // 00000000A0C4: 0ABD2D5E
	v_mul_f32_e32 v95, v95, v151                               // 00000000A0C8: 0ABF2F5F
	v_mul_f32_e64 v4, -v96, s6                                 // 00000000A0CC: D1050004 20000D60
	v_mul_f32_e64 v5, -v97, s6                                 // 00000000A0D4: D1050005 20000D61
	v_mul_f32_e64 v6, -v98, s6                                 // 00000000A0DC: D1050006 20000D62
	v_mul_f32_e64 v7, -v99, s6                                 // 00000000A0E4: D1050007 20000D63
	v_exp_f32_e32 v4, v4                                       // 00000000A0EC: 7E084104
	v_exp_f32_e32 v5, v5                                       // 00000000A0F0: 7E0A4105
	v_exp_f32_e32 v6, v6                                       // 00000000A0F4: 7E0C4106
	v_exp_f32_e32 v7, v7                                       // 00000000A0F8: 7E0E4107
	v_add_f32_e64 v4, v4, 1.0                                  // 00000000A0FC: D1010004 0001E504
	v_add_f32_e64 v5, v5, 1.0                                  // 00000000A104: D1010005 0001E505
	v_add_f32_e64 v6, v6, 1.0                                  // 00000000A10C: D1010006 0001E506
	v_add_f32_e64 v7, v7, 1.0                                  // 00000000A114: D1010007 0001E507
	v_rcp_f32_e32 v4, v4                                       // 00000000A11C: 7E084504
	v_rcp_f32_e32 v5, v5                                       // 00000000A120: 7E0A4505
	v_rcp_f32_e32 v6, v6                                       // 00000000A124: 7E0C4506
	v_rcp_f32_e32 v7, v7                                       // 00000000A128: 7E0E4507
	v_mul_f32_e32 v96, v96, v4                                 // 00000000A12C: 0AC00960
	v_mul_f32_e32 v97, v97, v5                                 // 00000000A130: 0AC20B61
	v_mul_f32_e32 v98, v98, v6                                 // 00000000A134: 0AC40D62
	v_mul_f32_e32 v99, v99, v7                                 // 00000000A138: 0AC60F63
	v_mul_f32_e32 v96, v96, v152                               // 00000000A13C: 0AC13160
	v_mul_f32_e32 v97, v97, v153                               // 00000000A140: 0AC33361
	v_mul_f32_e32 v98, v98, v154                               // 00000000A144: 0AC53562
	v_mul_f32_e32 v99, v99, v155                               // 00000000A148: 0AC73763
	v_mul_f32_e64 v4, -v100, s6                                // 00000000A14C: D1050004 20000D64
	v_mul_f32_e64 v5, -v101, s6                                // 00000000A154: D1050005 20000D65
	v_mul_f32_e64 v6, -v102, s6                                // 00000000A15C: D1050006 20000D66
	v_mul_f32_e64 v7, -v103, s6                                // 00000000A164: D1050007 20000D67
	v_exp_f32_e32 v4, v4                                       // 00000000A16C: 7E084104
	v_exp_f32_e32 v5, v5                                       // 00000000A170: 7E0A4105
	v_exp_f32_e32 v6, v6                                       // 00000000A174: 7E0C4106
	v_exp_f32_e32 v7, v7                                       // 00000000A178: 7E0E4107
	v_add_f32_e64 v4, v4, 1.0                                  // 00000000A17C: D1010004 0001E504
	v_add_f32_e64 v5, v5, 1.0                                  // 00000000A184: D1010005 0001E505
	v_add_f32_e64 v6, v6, 1.0                                  // 00000000A18C: D1010006 0001E506
	v_add_f32_e64 v7, v7, 1.0                                  // 00000000A194: D1010007 0001E507
	v_rcp_f32_e32 v4, v4                                       // 00000000A19C: 7E084504
	v_rcp_f32_e32 v5, v5                                       // 00000000A1A0: 7E0A4505
	v_rcp_f32_e32 v6, v6                                       // 00000000A1A4: 7E0C4506
	v_rcp_f32_e32 v7, v7                                       // 00000000A1A8: 7E0E4507
	v_mul_f32_e32 v100, v100, v4                               // 00000000A1AC: 0AC80964
	v_mul_f32_e32 v101, v101, v5                               // 00000000A1B0: 0ACA0B65
	v_mul_f32_e32 v102, v102, v6                               // 00000000A1B4: 0ACC0D66
	v_mul_f32_e32 v103, v103, v7                               // 00000000A1B8: 0ACE0F67
	v_mul_f32_e32 v100, v100, v156                             // 00000000A1BC: 0AC93964
	v_mul_f32_e32 v101, v101, v157                             // 00000000A1C0: 0ACB3B65
	v_mul_f32_e32 v102, v102, v158                             // 00000000A1C4: 0ACD3D66
	v_mul_f32_e32 v103, v103, v159                             // 00000000A1C8: 0ACF3F67
	v_mul_f32_e64 v4, -v104, s6                                // 00000000A1CC: D1050004 20000D68
	v_mul_f32_e64 v5, -v105, s6                                // 00000000A1D4: D1050005 20000D69
	v_mul_f32_e64 v6, -v106, s6                                // 00000000A1DC: D1050006 20000D6A
	v_mul_f32_e64 v7, -v107, s6                                // 00000000A1E4: D1050007 20000D6B
	v_exp_f32_e32 v4, v4                                       // 00000000A1EC: 7E084104
	v_exp_f32_e32 v5, v5                                       // 00000000A1F0: 7E0A4105
	v_exp_f32_e32 v6, v6                                       // 00000000A1F4: 7E0C4106
	v_exp_f32_e32 v7, v7                                       // 00000000A1F8: 7E0E4107
	v_add_f32_e64 v4, v4, 1.0                                  // 00000000A1FC: D1010004 0001E504
	v_add_f32_e64 v5, v5, 1.0                                  // 00000000A204: D1010005 0001E505
	v_add_f32_e64 v6, v6, 1.0                                  // 00000000A20C: D1010006 0001E506
	v_add_f32_e64 v7, v7, 1.0                                  // 00000000A214: D1010007 0001E507
	v_rcp_f32_e32 v4, v4                                       // 00000000A21C: 7E084504
	v_rcp_f32_e32 v5, v5                                       // 00000000A220: 7E0A4505
	v_rcp_f32_e32 v6, v6                                       // 00000000A224: 7E0C4506
	v_rcp_f32_e32 v7, v7                                       // 00000000A228: 7E0E4507
	v_mul_f32_e32 v104, v104, v4                               // 00000000A22C: 0AD00968
	v_mul_f32_e32 v105, v105, v5                               // 00000000A230: 0AD20B69
	v_mul_f32_e32 v106, v106, v6                               // 00000000A234: 0AD40D6A
	v_mul_f32_e32 v107, v107, v7                               // 00000000A238: 0AD60F6B
	v_mul_f32_e32 v104, v104, v160                             // 00000000A23C: 0AD14168
	v_mul_f32_e32 v105, v105, v161                             // 00000000A240: 0AD34369
	v_mul_f32_e32 v106, v106, v162                             // 00000000A244: 0AD5456A
	v_mul_f32_e32 v107, v107, v163                             // 00000000A248: 0AD7476B
	v_mul_f32_e64 v4, -v108, s6                                // 00000000A24C: D1050004 20000D6C
	v_mul_f32_e64 v5, -v109, s6                                // 00000000A254: D1050005 20000D6D
	v_mul_f32_e64 v6, -v110, s6                                // 00000000A25C: D1050006 20000D6E
	v_mul_f32_e64 v7, -v111, s6                                // 00000000A264: D1050007 20000D6F
	v_exp_f32_e32 v4, v4                                       // 00000000A26C: 7E084104
	v_exp_f32_e32 v5, v5                                       // 00000000A270: 7E0A4105
	v_exp_f32_e32 v6, v6                                       // 00000000A274: 7E0C4106
	v_exp_f32_e32 v7, v7                                       // 00000000A278: 7E0E4107
	v_add_f32_e64 v4, v4, 1.0                                  // 00000000A27C: D1010004 0001E504
	v_add_f32_e64 v5, v5, 1.0                                  // 00000000A284: D1010005 0001E505
	v_add_f32_e64 v6, v6, 1.0                                  // 00000000A28C: D1010006 0001E506
	v_add_f32_e64 v7, v7, 1.0                                  // 00000000A294: D1010007 0001E507
	v_rcp_f32_e32 v4, v4                                       // 00000000A29C: 7E084504
	v_rcp_f32_e32 v5, v5                                       // 00000000A2A0: 7E0A4505
	v_rcp_f32_e32 v6, v6                                       // 00000000A2A4: 7E0C4506
	v_rcp_f32_e32 v7, v7                                       // 00000000A2A8: 7E0E4507
	v_mul_f32_e32 v108, v108, v4                               // 00000000A2AC: 0AD8096C
	v_mul_f32_e32 v109, v109, v5                               // 00000000A2B0: 0ADA0B6D
	v_mul_f32_e32 v110, v110, v6                               // 00000000A2B4: 0ADC0D6E
	v_mul_f32_e32 v111, v111, v7                               // 00000000A2B8: 0ADE0F6F
	v_mul_f32_e32 v108, v108, v164                             // 00000000A2BC: 0AD9496C
	v_mul_f32_e32 v109, v109, v165                             // 00000000A2C0: 0ADB4B6D
	v_mul_f32_e32 v110, v110, v166                             // 00000000A2C4: 0ADD4D6E
	v_mul_f32_e32 v111, v111, v167                             // 00000000A2C8: 0ADF4F6F
	v_mul_f32_e64 v4, -v112, s6                                // 00000000A2CC: D1050004 20000D70
	v_mul_f32_e64 v5, -v113, s6                                // 00000000A2D4: D1050005 20000D71
	v_mul_f32_e64 v6, -v114, s6                                // 00000000A2DC: D1050006 20000D72
	v_mul_f32_e64 v7, -v115, s6                                // 00000000A2E4: D1050007 20000D73
	v_exp_f32_e32 v4, v4                                       // 00000000A2EC: 7E084104
	v_exp_f32_e32 v5, v5                                       // 00000000A2F0: 7E0A4105
	v_exp_f32_e32 v6, v6                                       // 00000000A2F4: 7E0C4106
	v_exp_f32_e32 v7, v7                                       // 00000000A2F8: 7E0E4107
	v_add_f32_e64 v4, v4, 1.0                                  // 00000000A2FC: D1010004 0001E504
	v_add_f32_e64 v5, v5, 1.0                                  // 00000000A304: D1010005 0001E505
	v_add_f32_e64 v6, v6, 1.0                                  // 00000000A30C: D1010006 0001E506
	v_add_f32_e64 v7, v7, 1.0                                  // 00000000A314: D1010007 0001E507
	v_rcp_f32_e32 v4, v4                                       // 00000000A31C: 7E084504
	v_rcp_f32_e32 v5, v5                                       // 00000000A320: 7E0A4505
	v_rcp_f32_e32 v6, v6                                       // 00000000A324: 7E0C4506
	v_rcp_f32_e32 v7, v7                                       // 00000000A328: 7E0E4507
	v_mul_f32_e32 v112, v112, v4                               // 00000000A32C: 0AE00970
	v_mul_f32_e32 v113, v113, v5                               // 00000000A330: 0AE20B71
	v_mul_f32_e32 v114, v114, v6                               // 00000000A334: 0AE40D72
	v_mul_f32_e32 v115, v115, v7                               // 00000000A338: 0AE60F73
	v_mul_f32_e32 v112, v112, v168                             // 00000000A33C: 0AE15170
	v_mul_f32_e32 v113, v113, v169                             // 00000000A340: 0AE35371
	v_mul_f32_e32 v114, v114, v170                             // 00000000A344: 0AE55572
	v_mul_f32_e32 v115, v115, v171                             // 00000000A348: 0AE75773
	v_mul_f32_e64 v4, -v116, s6                                // 00000000A34C: D1050004 20000D74
	v_mul_f32_e64 v5, -v117, s6                                // 00000000A354: D1050005 20000D75
	v_mul_f32_e64 v6, -v118, s6                                // 00000000A35C: D1050006 20000D76
	v_mul_f32_e64 v7, -v119, s6                                // 00000000A364: D1050007 20000D77
	v_exp_f32_e32 v4, v4                                       // 00000000A36C: 7E084104
	v_exp_f32_e32 v5, v5                                       // 00000000A370: 7E0A4105
	v_exp_f32_e32 v6, v6                                       // 00000000A374: 7E0C4106
	v_exp_f32_e32 v7, v7                                       // 00000000A378: 7E0E4107
	v_add_f32_e64 v4, v4, 1.0                                  // 00000000A37C: D1010004 0001E504
	v_add_f32_e64 v5, v5, 1.0                                  // 00000000A384: D1010005 0001E505
	v_add_f32_e64 v6, v6, 1.0                                  // 00000000A38C: D1010006 0001E506
	v_add_f32_e64 v7, v7, 1.0                                  // 00000000A394: D1010007 0001E507
	v_rcp_f32_e32 v4, v4                                       // 00000000A39C: 7E084504
	v_rcp_f32_e32 v5, v5                                       // 00000000A3A0: 7E0A4505
	v_rcp_f32_e32 v6, v6                                       // 00000000A3A4: 7E0C4506
	v_rcp_f32_e32 v7, v7                                       // 00000000A3A8: 7E0E4507
	v_mul_f32_e32 v116, v116, v4                               // 00000000A3AC: 0AE80974
	v_mul_f32_e32 v117, v117, v5                               // 00000000A3B0: 0AEA0B75
	v_mul_f32_e32 v118, v118, v6                               // 00000000A3B4: 0AEC0D76
	v_mul_f32_e32 v119, v119, v7                               // 00000000A3B8: 0AEE0F77
	v_mul_f32_e32 v116, v116, v172                             // 00000000A3BC: 0AE95974
	v_mul_f32_e32 v117, v117, v173                             // 00000000A3C0: 0AEB5B75
	v_mul_f32_e32 v118, v118, v174                             // 00000000A3C4: 0AED5D76
	v_mul_f32_e32 v119, v119, v175                             // 00000000A3C8: 0AEF5F77
	v_mul_f32_e64 v4, -v120, s6                                // 00000000A3CC: D1050004 20000D78
	v_mul_f32_e64 v5, -v121, s6                                // 00000000A3D4: D1050005 20000D79
	v_mul_f32_e64 v6, -v122, s6                                // 00000000A3DC: D1050006 20000D7A
	v_mul_f32_e64 v7, -v123, s6                                // 00000000A3E4: D1050007 20000D7B
	v_exp_f32_e32 v4, v4                                       // 00000000A3EC: 7E084104
	v_exp_f32_e32 v5, v5                                       // 00000000A3F0: 7E0A4105
	v_exp_f32_e32 v6, v6                                       // 00000000A3F4: 7E0C4106
	v_exp_f32_e32 v7, v7                                       // 00000000A3F8: 7E0E4107
	v_add_f32_e64 v4, v4, 1.0                                  // 00000000A3FC: D1010004 0001E504
	v_add_f32_e64 v5, v5, 1.0                                  // 00000000A404: D1010005 0001E505
	v_add_f32_e64 v6, v6, 1.0                                  // 00000000A40C: D1010006 0001E506
	v_add_f32_e64 v7, v7, 1.0                                  // 00000000A414: D1010007 0001E507
	v_rcp_f32_e32 v4, v4                                       // 00000000A41C: 7E084504
	v_rcp_f32_e32 v5, v5                                       // 00000000A420: 7E0A4505
	v_rcp_f32_e32 v6, v6                                       // 00000000A424: 7E0C4506
	v_rcp_f32_e32 v7, v7                                       // 00000000A428: 7E0E4507
	v_mul_f32_e32 v120, v120, v4                               // 00000000A42C: 0AF00978
	v_mul_f32_e32 v121, v121, v5                               // 00000000A430: 0AF20B79
	v_mul_f32_e32 v122, v122, v6                               // 00000000A434: 0AF40D7A
	v_mul_f32_e32 v123, v123, v7                               // 00000000A438: 0AF60F7B
	v_mul_f32_e32 v120, v120, v176                             // 00000000A43C: 0AF16178
	v_mul_f32_e32 v121, v121, v177                             // 00000000A440: 0AF36379
	v_mul_f32_e32 v122, v122, v178                             // 00000000A444: 0AF5657A
	v_mul_f32_e32 v123, v123, v179                             // 00000000A448: 0AF7677B
	v_mul_f32_e64 v4, -v124, s6                                // 00000000A44C: D1050004 20000D7C
	v_mul_f32_e64 v5, -v125, s6                                // 00000000A454: D1050005 20000D7D
	v_mul_f32_e64 v6, -v126, s6                                // 00000000A45C: D1050006 20000D7E
	v_mul_f32_e64 v7, -v127, s6                                // 00000000A464: D1050007 20000D7F
	v_exp_f32_e32 v4, v4                                       // 00000000A46C: 7E084104
	v_exp_f32_e32 v5, v5                                       // 00000000A470: 7E0A4105
	v_exp_f32_e32 v6, v6                                       // 00000000A474: 7E0C4106
	v_exp_f32_e32 v7, v7                                       // 00000000A478: 7E0E4107
	v_add_f32_e64 v4, v4, 1.0                                  // 00000000A47C: D1010004 0001E504
	v_add_f32_e64 v5, v5, 1.0                                  // 00000000A484: D1010005 0001E505
	v_add_f32_e64 v6, v6, 1.0                                  // 00000000A48C: D1010006 0001E506
	v_add_f32_e64 v7, v7, 1.0                                  // 00000000A494: D1010007 0001E507
	v_rcp_f32_e32 v4, v4                                       // 00000000A49C: 7E084504
	v_rcp_f32_e32 v5, v5                                       // 00000000A4A0: 7E0A4505
	v_rcp_f32_e32 v6, v6                                       // 00000000A4A4: 7E0C4506
	v_rcp_f32_e32 v7, v7                                       // 00000000A4A8: 7E0E4507
	v_mul_f32_e32 v124, v124, v4                               // 00000000A4AC: 0AF8097C
	v_mul_f32_e32 v125, v125, v5                               // 00000000A4B0: 0AFA0B7D
	v_mul_f32_e32 v126, v126, v6                               // 00000000A4B4: 0AFC0D7E
	v_mul_f32_e32 v127, v127, v7                               // 00000000A4B8: 0AFE0F7F
	v_mul_f32_e32 v124, v124, v180                             // 00000000A4BC: 0AF9697C
	v_mul_f32_e32 v125, v125, v181                             // 00000000A4C0: 0AFB6B7D
	v_mul_f32_e32 v126, v126, v182                             // 00000000A4C4: 0AFD6D7E
	v_mul_f32_e32 v127, v127, v183                             // 00000000A4C8: 0AFF6F7F

000000000000a4cc <label_1EB6>:
	v_cmp_u_f32_e64 s[46:47], v72, v72                         // 00000000A4CC: D048002E 00029148
	v_add3_u32 v16, v72, v19, 1                                // 00000000A4D4: D1FF0010 02062748
	v_cndmask_b32_e64 v4, v16, v18, s[46:47]                   // 00000000A4DC: D1000004 00BA2510
	v_cmp_u_f32_e64 s[46:47], v73, v73                         // 00000000A4E4: D048002E 00029349
	v_add3_u32 v16, v73, v19, 1                                // 00000000A4EC: D1FF0010 02062749
	v_cndmask_b32_e64 v5, v16, v18, s[46:47]                   // 00000000A4F4: D1000005 00BA2510
	v_perm_b32 v72, v5, v4, s52                                // 00000000A4FC: D1ED0048 00D20905
	v_cmp_u_f32_e64 s[46:47], v74, v74                         // 00000000A504: D048002E 0002954A
	v_add3_u32 v16, v74, v19, 1                                // 00000000A50C: D1FF0010 0206274A
	v_cndmask_b32_e64 v4, v16, v18, s[46:47]                   // 00000000A514: D1000004 00BA2510
	v_cmp_u_f32_e64 s[46:47], v75, v75                         // 00000000A51C: D048002E 0002974B
	v_add3_u32 v16, v75, v19, 1                                // 00000000A524: D1FF0010 0206274B
	v_cndmask_b32_e64 v5, v16, v18, s[46:47]                   // 00000000A52C: D1000005 00BA2510
	v_perm_b32 v73, v5, v4, s52                                // 00000000A534: D1ED0049 00D20905
	v_cmp_u_f32_e64 s[46:47], v76, v76                         // 00000000A53C: D048002E 0002994C
	v_add3_u32 v16, v76, v19, 1                                // 00000000A544: D1FF0010 0206274C
	v_cndmask_b32_e64 v4, v16, v18, s[46:47]                   // 00000000A54C: D1000004 00BA2510
	v_cmp_u_f32_e64 s[46:47], v77, v77                         // 00000000A554: D048002E 00029B4D
	v_add3_u32 v16, v77, v19, 1                                // 00000000A55C: D1FF0010 0206274D
	v_cndmask_b32_e64 v5, v16, v18, s[46:47]                   // 00000000A564: D1000005 00BA2510
	v_perm_b32 v74, v5, v4, s52                                // 00000000A56C: D1ED004A 00D20905
	v_cmp_u_f32_e64 s[46:47], v78, v78                         // 00000000A574: D048002E 00029D4E
	v_add3_u32 v16, v78, v19, 1                                // 00000000A57C: D1FF0010 0206274E
	v_cndmask_b32_e64 v4, v16, v18, s[46:47]                   // 00000000A584: D1000004 00BA2510
	v_cmp_u_f32_e64 s[46:47], v79, v79                         // 00000000A58C: D048002E 00029F4F
	v_add3_u32 v16, v79, v19, 1                                // 00000000A594: D1FF0010 0206274F
	v_cndmask_b32_e64 v5, v16, v18, s[46:47]                   // 00000000A59C: D1000005 00BA2510
	v_perm_b32 v75, v5, v4, s52                                // 00000000A5A4: D1ED004B 00D20905
	v_cmp_u_f32_e64 s[46:47], v80, v80                         // 00000000A5AC: D048002E 0002A150
	v_add3_u32 v16, v80, v19, 1                                // 00000000A5B4: D1FF0010 02062750
	v_cndmask_b32_e64 v4, v16, v18, s[46:47]                   // 00000000A5BC: D1000004 00BA2510
	v_cmp_u_f32_e64 s[46:47], v81, v81                         // 00000000A5C4: D048002E 0002A351
	v_add3_u32 v16, v81, v19, 1                                // 00000000A5CC: D1FF0010 02062751
	v_cndmask_b32_e64 v5, v16, v18, s[46:47]                   // 00000000A5D4: D1000005 00BA2510
	v_perm_b32 v76, v5, v4, s52                                // 00000000A5DC: D1ED004C 00D20905
	v_cmp_u_f32_e64 s[46:47], v82, v82                         // 00000000A5E4: D048002E 0002A552
	v_add3_u32 v16, v82, v19, 1                                // 00000000A5EC: D1FF0010 02062752
	v_cndmask_b32_e64 v4, v16, v18, s[46:47]                   // 00000000A5F4: D1000004 00BA2510
	v_cmp_u_f32_e64 s[46:47], v83, v83                         // 00000000A5FC: D048002E 0002A753
	v_add3_u32 v16, v83, v19, 1                                // 00000000A604: D1FF0010 02062753
	v_cndmask_b32_e64 v5, v16, v18, s[46:47]                   // 00000000A60C: D1000005 00BA2510
	v_perm_b32 v77, v5, v4, s52                                // 00000000A614: D1ED004D 00D20905
	v_cmp_u_f32_e64 s[46:47], v84, v84                         // 00000000A61C: D048002E 0002A954
	v_add3_u32 v16, v84, v19, 1                                // 00000000A624: D1FF0010 02062754
	v_cndmask_b32_e64 v4, v16, v18, s[46:47]                   // 00000000A62C: D1000004 00BA2510
	v_cmp_u_f32_e64 s[46:47], v85, v85                         // 00000000A634: D048002E 0002AB55
	v_add3_u32 v16, v85, v19, 1                                // 00000000A63C: D1FF0010 02062755
	v_cndmask_b32_e64 v5, v16, v18, s[46:47]                   // 00000000A644: D1000005 00BA2510
	v_perm_b32 v78, v5, v4, s52                                // 00000000A64C: D1ED004E 00D20905
	v_cmp_u_f32_e64 s[46:47], v86, v86                         // 00000000A654: D048002E 0002AD56
	v_add3_u32 v16, v86, v19, 1                                // 00000000A65C: D1FF0010 02062756
	v_cndmask_b32_e64 v4, v16, v18, s[46:47]                   // 00000000A664: D1000004 00BA2510
	v_cmp_u_f32_e64 s[46:47], v87, v87                         // 00000000A66C: D048002E 0002AF57
	v_add3_u32 v16, v87, v19, 1                                // 00000000A674: D1FF0010 02062757
	v_cndmask_b32_e64 v5, v16, v18, s[46:47]                   // 00000000A67C: D1000005 00BA2510
	v_perm_b32 v79, v5, v4, s52                                // 00000000A684: D1ED004F 00D20905
	v_cmp_u_f32_e64 s[46:47], v88, v88                         // 00000000A68C: D048002E 0002B158
	v_add3_u32 v16, v88, v19, 1                                // 00000000A694: D1FF0010 02062758
	v_cndmask_b32_e64 v4, v16, v18, s[46:47]                   // 00000000A69C: D1000004 00BA2510
	v_cmp_u_f32_e64 s[46:47], v89, v89                         // 00000000A6A4: D048002E 0002B359
	v_add3_u32 v16, v89, v19, 1                                // 00000000A6AC: D1FF0010 02062759
	v_cndmask_b32_e64 v5, v16, v18, s[46:47]                   // 00000000A6B4: D1000005 00BA2510
	v_perm_b32 v80, v5, v4, s52                                // 00000000A6BC: D1ED0050 00D20905
	v_cmp_u_f32_e64 s[46:47], v90, v90                         // 00000000A6C4: D048002E 0002B55A
	v_add3_u32 v16, v90, v19, 1                                // 00000000A6CC: D1FF0010 0206275A
	v_cndmask_b32_e64 v4, v16, v18, s[46:47]                   // 00000000A6D4: D1000004 00BA2510
	v_cmp_u_f32_e64 s[46:47], v91, v91                         // 00000000A6DC: D048002E 0002B75B
	v_add3_u32 v16, v91, v19, 1                                // 00000000A6E4: D1FF0010 0206275B
	v_cndmask_b32_e64 v5, v16, v18, s[46:47]                   // 00000000A6EC: D1000005 00BA2510
	v_perm_b32 v81, v5, v4, s52                                // 00000000A6F4: D1ED0051 00D20905
	v_cmp_u_f32_e64 s[46:47], v92, v92                         // 00000000A6FC: D048002E 0002B95C
	v_add3_u32 v16, v92, v19, 1                                // 00000000A704: D1FF0010 0206275C
	v_cndmask_b32_e64 v4, v16, v18, s[46:47]                   // 00000000A70C: D1000004 00BA2510
	v_cmp_u_f32_e64 s[46:47], v93, v93                         // 00000000A714: D048002E 0002BB5D
	v_add3_u32 v16, v93, v19, 1                                // 00000000A71C: D1FF0010 0206275D
	v_cndmask_b32_e64 v5, v16, v18, s[46:47]                   // 00000000A724: D1000005 00BA2510
	v_perm_b32 v82, v5, v4, s52                                // 00000000A72C: D1ED0052 00D20905
	v_cmp_u_f32_e64 s[46:47], v94, v94                         // 00000000A734: D048002E 0002BD5E
	v_add3_u32 v16, v94, v19, 1                                // 00000000A73C: D1FF0010 0206275E
	v_cndmask_b32_e64 v4, v16, v18, s[46:47]                   // 00000000A744: D1000004 00BA2510
	v_cmp_u_f32_e64 s[46:47], v95, v95                         // 00000000A74C: D048002E 0002BF5F
	v_add3_u32 v16, v95, v19, 1                                // 00000000A754: D1FF0010 0206275F
	v_cndmask_b32_e64 v5, v16, v18, s[46:47]                   // 00000000A75C: D1000005 00BA2510
	v_perm_b32 v83, v5, v4, s52                                // 00000000A764: D1ED0053 00D20905
	v_cmp_u_f32_e64 s[46:47], v96, v96                         // 00000000A76C: D048002E 0002C160
	v_add3_u32 v16, v96, v19, 1                                // 00000000A774: D1FF0010 02062760
	v_cndmask_b32_e64 v4, v16, v18, s[46:47]                   // 00000000A77C: D1000004 00BA2510
	v_cmp_u_f32_e64 s[46:47], v97, v97                         // 00000000A784: D048002E 0002C361
	v_add3_u32 v16, v97, v19, 1                                // 00000000A78C: D1FF0010 02062761
	v_cndmask_b32_e64 v5, v16, v18, s[46:47]                   // 00000000A794: D1000005 00BA2510
	v_perm_b32 v84, v5, v4, s52                                // 00000000A79C: D1ED0054 00D20905
	v_cmp_u_f32_e64 s[46:47], v98, v98                         // 00000000A7A4: D048002E 0002C562
	v_add3_u32 v16, v98, v19, 1                                // 00000000A7AC: D1FF0010 02062762
	v_cndmask_b32_e64 v4, v16, v18, s[46:47]                   // 00000000A7B4: D1000004 00BA2510
	v_cmp_u_f32_e64 s[46:47], v99, v99                         // 00000000A7BC: D048002E 0002C763
	v_add3_u32 v16, v99, v19, 1                                // 00000000A7C4: D1FF0010 02062763
	v_cndmask_b32_e64 v5, v16, v18, s[46:47]                   // 00000000A7CC: D1000005 00BA2510
	v_perm_b32 v85, v5, v4, s52                                // 00000000A7D4: D1ED0055 00D20905
	v_cmp_u_f32_e64 s[46:47], v100, v100                       // 00000000A7DC: D048002E 0002C964
	v_add3_u32 v16, v100, v19, 1                               // 00000000A7E4: D1FF0010 02062764
	v_cndmask_b32_e64 v4, v16, v18, s[46:47]                   // 00000000A7EC: D1000004 00BA2510
	v_cmp_u_f32_e64 s[46:47], v101, v101                       // 00000000A7F4: D048002E 0002CB65
	v_add3_u32 v16, v101, v19, 1                               // 00000000A7FC: D1FF0010 02062765
	v_cndmask_b32_e64 v5, v16, v18, s[46:47]                   // 00000000A804: D1000005 00BA2510
	v_perm_b32 v86, v5, v4, s52                                // 00000000A80C: D1ED0056 00D20905
	v_cmp_u_f32_e64 s[46:47], v102, v102                       // 00000000A814: D048002E 0002CD66
	v_add3_u32 v16, v102, v19, 1                               // 00000000A81C: D1FF0010 02062766
	v_cndmask_b32_e64 v4, v16, v18, s[46:47]                   // 00000000A824: D1000004 00BA2510
	v_cmp_u_f32_e64 s[46:47], v103, v103                       // 00000000A82C: D048002E 0002CF67
	v_add3_u32 v16, v103, v19, 1                               // 00000000A834: D1FF0010 02062767
	v_cndmask_b32_e64 v5, v16, v18, s[46:47]                   // 00000000A83C: D1000005 00BA2510
	v_perm_b32 v87, v5, v4, s52                                // 00000000A844: D1ED0057 00D20905
	v_cmp_u_f32_e64 s[46:47], v104, v104                       // 00000000A84C: D048002E 0002D168
	v_add3_u32 v16, v104, v19, 1                               // 00000000A854: D1FF0010 02062768
	v_cndmask_b32_e64 v4, v16, v18, s[46:47]                   // 00000000A85C: D1000004 00BA2510
	v_cmp_u_f32_e64 s[46:47], v105, v105                       // 00000000A864: D048002E 0002D369
	v_add3_u32 v16, v105, v19, 1                               // 00000000A86C: D1FF0010 02062769
	v_cndmask_b32_e64 v5, v16, v18, s[46:47]                   // 00000000A874: D1000005 00BA2510
	v_perm_b32 v88, v5, v4, s52                                // 00000000A87C: D1ED0058 00D20905
	v_cmp_u_f32_e64 s[46:47], v106, v106                       // 00000000A884: D048002E 0002D56A
	v_add3_u32 v16, v106, v19, 1                               // 00000000A88C: D1FF0010 0206276A
	v_cndmask_b32_e64 v4, v16, v18, s[46:47]                   // 00000000A894: D1000004 00BA2510
	v_cmp_u_f32_e64 s[46:47], v107, v107                       // 00000000A89C: D048002E 0002D76B
	v_add3_u32 v16, v107, v19, 1                               // 00000000A8A4: D1FF0010 0206276B
	v_cndmask_b32_e64 v5, v16, v18, s[46:47]                   // 00000000A8AC: D1000005 00BA2510
	v_perm_b32 v89, v5, v4, s52                                // 00000000A8B4: D1ED0059 00D20905
	v_cmp_u_f32_e64 s[46:47], v108, v108                       // 00000000A8BC: D048002E 0002D96C
	v_add3_u32 v16, v108, v19, 1                               // 00000000A8C4: D1FF0010 0206276C
	v_cndmask_b32_e64 v4, v16, v18, s[46:47]                   // 00000000A8CC: D1000004 00BA2510
	v_cmp_u_f32_e64 s[46:47], v109, v109                       // 00000000A8D4: D048002E 0002DB6D
	v_add3_u32 v16, v109, v19, 1                               // 00000000A8DC: D1FF0010 0206276D
	v_cndmask_b32_e64 v5, v16, v18, s[46:47]                   // 00000000A8E4: D1000005 00BA2510
	v_perm_b32 v90, v5, v4, s52                                // 00000000A8EC: D1ED005A 00D20905
	v_cmp_u_f32_e64 s[46:47], v110, v110                       // 00000000A8F4: D048002E 0002DD6E
	v_add3_u32 v16, v110, v19, 1                               // 00000000A8FC: D1FF0010 0206276E
	v_cndmask_b32_e64 v4, v16, v18, s[46:47]                   // 00000000A904: D1000004 00BA2510
	v_cmp_u_f32_e64 s[46:47], v111, v111                       // 00000000A90C: D048002E 0002DF6F
	v_add3_u32 v16, v111, v19, 1                               // 00000000A914: D1FF0010 0206276F
	v_cndmask_b32_e64 v5, v16, v18, s[46:47]                   // 00000000A91C: D1000005 00BA2510
	v_perm_b32 v91, v5, v4, s52                                // 00000000A924: D1ED005B 00D20905
	v_cmp_u_f32_e64 s[46:47], v112, v112                       // 00000000A92C: D048002E 0002E170
	v_add3_u32 v16, v112, v19, 1                               // 00000000A934: D1FF0010 02062770
	v_cndmask_b32_e64 v4, v16, v18, s[46:47]                   // 00000000A93C: D1000004 00BA2510
	v_cmp_u_f32_e64 s[46:47], v113, v113                       // 00000000A944: D048002E 0002E371
	v_add3_u32 v16, v113, v19, 1                               // 00000000A94C: D1FF0010 02062771
	v_cndmask_b32_e64 v5, v16, v18, s[46:47]                   // 00000000A954: D1000005 00BA2510
	v_perm_b32 v92, v5, v4, s52                                // 00000000A95C: D1ED005C 00D20905
	v_cmp_u_f32_e64 s[46:47], v114, v114                       // 00000000A964: D048002E 0002E572
	v_add3_u32 v16, v114, v19, 1                               // 00000000A96C: D1FF0010 02062772
	v_cndmask_b32_e64 v4, v16, v18, s[46:47]                   // 00000000A974: D1000004 00BA2510
	v_cmp_u_f32_e64 s[46:47], v115, v115                       // 00000000A97C: D048002E 0002E773
	v_add3_u32 v16, v115, v19, 1                               // 00000000A984: D1FF0010 02062773
	v_cndmask_b32_e64 v5, v16, v18, s[46:47]                   // 00000000A98C: D1000005 00BA2510
	v_perm_b32 v93, v5, v4, s52                                // 00000000A994: D1ED005D 00D20905
	v_cmp_u_f32_e64 s[46:47], v116, v116                       // 00000000A99C: D048002E 0002E974
	v_add3_u32 v16, v116, v19, 1                               // 00000000A9A4: D1FF0010 02062774
	v_cndmask_b32_e64 v4, v16, v18, s[46:47]                   // 00000000A9AC: D1000004 00BA2510
	v_cmp_u_f32_e64 s[46:47], v117, v117                       // 00000000A9B4: D048002E 0002EB75
	v_add3_u32 v16, v117, v19, 1                               // 00000000A9BC: D1FF0010 02062775
	v_cndmask_b32_e64 v5, v16, v18, s[46:47]                   // 00000000A9C4: D1000005 00BA2510
	v_perm_b32 v94, v5, v4, s52                                // 00000000A9CC: D1ED005E 00D20905
	v_cmp_u_f32_e64 s[46:47], v118, v118                       // 00000000A9D4: D048002E 0002ED76
	v_add3_u32 v16, v118, v19, 1                               // 00000000A9DC: D1FF0010 02062776
	v_cndmask_b32_e64 v4, v16, v18, s[46:47]                   // 00000000A9E4: D1000004 00BA2510
	v_cmp_u_f32_e64 s[46:47], v119, v119                       // 00000000A9EC: D048002E 0002EF77
	v_add3_u32 v16, v119, v19, 1                               // 00000000A9F4: D1FF0010 02062777
	v_cndmask_b32_e64 v5, v16, v18, s[46:47]                   // 00000000A9FC: D1000005 00BA2510
	v_perm_b32 v95, v5, v4, s52                                // 00000000AA04: D1ED005F 00D20905
	v_cmp_u_f32_e64 s[46:47], v120, v120                       // 00000000AA0C: D048002E 0002F178
	v_add3_u32 v16, v120, v19, 1                               // 00000000AA14: D1FF0010 02062778
	v_cndmask_b32_e64 v4, v16, v18, s[46:47]                   // 00000000AA1C: D1000004 00BA2510
	v_cmp_u_f32_e64 s[46:47], v121, v121                       // 00000000AA24: D048002E 0002F379
	v_add3_u32 v16, v121, v19, 1                               // 00000000AA2C: D1FF0010 02062779
	v_cndmask_b32_e64 v5, v16, v18, s[46:47]                   // 00000000AA34: D1000005 00BA2510
	v_perm_b32 v96, v5, v4, s52                                // 00000000AA3C: D1ED0060 00D20905
	v_cmp_u_f32_e64 s[46:47], v122, v122                       // 00000000AA44: D048002E 0002F57A
	v_add3_u32 v16, v122, v19, 1                               // 00000000AA4C: D1FF0010 0206277A
	v_cndmask_b32_e64 v4, v16, v18, s[46:47]                   // 00000000AA54: D1000004 00BA2510
	v_cmp_u_f32_e64 s[46:47], v123, v123                       // 00000000AA5C: D048002E 0002F77B
	v_add3_u32 v16, v123, v19, 1                               // 00000000AA64: D1FF0010 0206277B
	v_cndmask_b32_e64 v5, v16, v18, s[46:47]                   // 00000000AA6C: D1000005 00BA2510
	v_perm_b32 v97, v5, v4, s52                                // 00000000AA74: D1ED0061 00D20905
	v_cmp_u_f32_e64 s[46:47], v124, v124                       // 00000000AA7C: D048002E 0002F97C
	v_add3_u32 v16, v124, v19, 1                               // 00000000AA84: D1FF0010 0206277C
	v_cndmask_b32_e64 v4, v16, v18, s[46:47]                   // 00000000AA8C: D1000004 00BA2510
	v_cmp_u_f32_e64 s[46:47], v125, v125                       // 00000000AA94: D048002E 0002FB7D
	v_add3_u32 v16, v125, v19, 1                               // 00000000AA9C: D1FF0010 0206277D
	v_cndmask_b32_e64 v5, v16, v18, s[46:47]                   // 00000000AAA4: D1000005 00BA2510
	v_perm_b32 v98, v5, v4, s52                                // 00000000AAAC: D1ED0062 00D20905
	v_cmp_u_f32_e64 s[46:47], v126, v126                       // 00000000AAB4: D048002E 0002FD7E
	v_add3_u32 v16, v126, v19, 1                               // 00000000AABC: D1FF0010 0206277E
	v_cndmask_b32_e64 v4, v16, v18, s[46:47]                   // 00000000AAC4: D1000004 00BA2510
	v_cmp_u_f32_e64 s[46:47], v127, v127                       // 00000000AACC: D048002E 0002FF7F
	v_add3_u32 v16, v127, v19, 1                               // 00000000AAD4: D1FF0010 0206277F
	v_cndmask_b32_e64 v5, v16, v18, s[46:47]                   // 00000000AADC: D1000005 00BA2510
	v_perm_b32 v99, v5, v4, s52                                // 00000000AAE4: D1ED0063 00D20905
	ds_write_b64 v20, v[72:73]                                 // 00000000AAEC: D89A0000 00004814
	ds_write_b64 v20, v[74:75] offset:4352                     // 00000000AAF4: D89A1100 00004A14
	ds_write_b64 v20, v[76:77] offset:8704                     // 00000000AAFC: D89A2200 00004C14
	ds_write_b64 v20, v[78:79] offset:13056                    // 00000000AB04: D89A3300 00004E14
	ds_write_b64 v20, v[80:81] offset:17408                    // 00000000AB0C: D89A4400 00005014
	ds_write_b64 v20, v[82:83] offset:21760                    // 00000000AB14: D89A5500 00005214
	ds_write_b64 v20, v[84:85] offset:26112                    // 00000000AB1C: D89A6600 00005414
	ds_write_b64 v20, v[86:87] offset:2176                     // 00000000AB24: D89A0880 00005614
	ds_write_b64 v20, v[88:89] offset:6528                     // 00000000AB2C: D89A1980 00005814
	ds_write_b64 v20, v[90:91] offset:10880                    // 00000000AB34: D89A2A80 00005A14
	ds_write_b64 v20, v[92:93] offset:15232                    // 00000000AB3C: D89A3B80 00005C14
	ds_write_b64 v20, v[94:95] offset:19584                    // 00000000AB44: D89A4C80 00005E14
	ds_write_b64 v20, v[96:97] offset:23936                    // 00000000AB4C: D89A5D80 00006014
	ds_write_b64 v20, v[98:99] offset:28288                    // 00000000AB54: D89A6E80 00006214
	v_lshrrev_b32_e32 v4, 5, v0                                // 00000000AB5C: 20080085
	v_xor_b32_e32 v5, 1, v4                                    // 00000000AB60: 2A0A0881
	s_mul_i32 s60, s65, 2                                      // 00000000AB64: 923C8241
	s_cmp_eq_u32 s88, 0                                        // 00000000AB68: BF068058
	s_cselect_b32 s61, 1, 4                                    // 00000000AB6C: 853D8481
	s_mul_i32 s60, s61, s60                                    // 00000000AB70: 923C3C3D
	v_readlane_b32 s82, v3, 0                                  // 00000000AB74: D2890052 00010103
	s_lshr_b32 s61, s82, 24                                    // 00000000AB7C: 8F3D9852
	s_and_b32 s82, s82, 0xffffff                               // 00000000AB80: 8652FF52 00FFFFFF
	s_mul_i32 s82, s82, s71                                    // 00000000AB88: 92524752
	s_mul_i32 s61, s60, s61                                    // 00000000AB8C: 923D3D3C
	s_add_u32 s82, s82, s61                                    // 00000000AB90: 80523D52
	v_mul_lo_u32 v6, v5, s82                                   // 00000000AB94: D2850006 0000A505
	v_readlane_b32 s82, v3, 1                                  // 00000000AB9C: D2890052 00010303
	s_lshr_b32 s61, s82, 24                                    // 00000000ABA4: 8F3D9852
	s_and_b32 s82, s82, 0xffffff                               // 00000000ABA8: 8652FF52 00FFFFFF
	s_mul_i32 s82, s82, s71                                    // 00000000ABB0: 92524752
	s_mul_i32 s61, s60, s61                                    // 00000000ABB4: 923D3D3C
	s_add_u32 s82, s82, s61                                    // 00000000ABB8: 80523D52
	v_mul_lo_u32 v7, v4, s82                                   // 00000000ABBC: D2850007 0000A504
	v_add_u32_e32 v56, v6, v7                                  // 00000000ABC4: 68700F06
	v_readlane_b32 s82, v3, 2                                  // 00000000ABC8: D2890052 00010503
	s_lshr_b32 s61, s82, 24                                    // 00000000ABD0: 8F3D9852
	s_and_b32 s82, s82, 0xffffff                               // 00000000ABD4: 8652FF52 00FFFFFF
	s_mul_i32 s82, s82, s71                                    // 00000000ABDC: 92524752
	s_mul_i32 s61, s60, s61                                    // 00000000ABE0: 923D3D3C
	s_add_u32 s82, s82, s61                                    // 00000000ABE4: 80523D52
	v_mul_lo_u32 v6, v5, s82                                   // 00000000ABE8: D2850006 0000A505
	v_readlane_b32 s82, v3, 3                                  // 00000000ABF0: D2890052 00010703
	s_lshr_b32 s61, s82, 24                                    // 00000000ABF8: 8F3D9852
	s_and_b32 s82, s82, 0xffffff                               // 00000000ABFC: 8652FF52 00FFFFFF
	s_mul_i32 s82, s82, s71                                    // 00000000AC04: 92524752
	s_mul_i32 s61, s60, s61                                    // 00000000AC08: 923D3D3C
	s_add_u32 s82, s82, s61                                    // 00000000AC0C: 80523D52
	v_mul_lo_u32 v7, v4, s82                                   // 00000000AC10: D2850007 0000A504
	v_add_u32_e32 v57, v6, v7                                  // 00000000AC18: 68720F06
	v_readlane_b32 s82, v3, 4                                  // 00000000AC1C: D2890052 00010903
	s_lshr_b32 s61, s82, 24                                    // 00000000AC24: 8F3D9852
	s_and_b32 s82, s82, 0xffffff                               // 00000000AC28: 8652FF52 00FFFFFF
	s_mul_i32 s82, s82, s71                                    // 00000000AC30: 92524752
	s_mul_i32 s61, s60, s61                                    // 00000000AC34: 923D3D3C
	s_add_u32 s82, s82, s61                                    // 00000000AC38: 80523D52
	v_mul_lo_u32 v6, v5, s82                                   // 00000000AC3C: D2850006 0000A505
	v_readlane_b32 s82, v3, 5                                  // 00000000AC44: D2890052 00010B03
	s_lshr_b32 s61, s82, 24                                    // 00000000AC4C: 8F3D9852
	s_and_b32 s82, s82, 0xffffff                               // 00000000AC50: 8652FF52 00FFFFFF
	s_mul_i32 s82, s82, s71                                    // 00000000AC58: 92524752
	s_mul_i32 s61, s60, s61                                    // 00000000AC5C: 923D3D3C
	s_add_u32 s82, s82, s61                                    // 00000000AC60: 80523D52
	v_mul_lo_u32 v7, v4, s82                                   // 00000000AC64: D2850007 0000A504
	v_add_u32_e32 v58, v6, v7                                  // 00000000AC6C: 68740F06
	v_readlane_b32 s82, v3, 6                                  // 00000000AC70: D2890052 00010D03
	s_lshr_b32 s61, s82, 24                                    // 00000000AC78: 8F3D9852
	s_and_b32 s82, s82, 0xffffff                               // 00000000AC7C: 8652FF52 00FFFFFF
	s_mul_i32 s82, s82, s71                                    // 00000000AC84: 92524752
	s_mul_i32 s61, s60, s61                                    // 00000000AC88: 923D3D3C
	s_add_u32 s82, s82, s61                                    // 00000000AC8C: 80523D52
	v_mul_lo_u32 v6, v5, s82                                   // 00000000AC90: D2850006 0000A505
	v_readlane_b32 s82, v3, 7                                  // 00000000AC98: D2890052 00010F03
	s_lshr_b32 s61, s82, 24                                    // 00000000ACA0: 8F3D9852
	s_and_b32 s82, s82, 0xffffff                               // 00000000ACA4: 8652FF52 00FFFFFF
	s_mul_i32 s82, s82, s71                                    // 00000000ACAC: 92524752
	s_mul_i32 s61, s60, s61                                    // 00000000ACB0: 923D3D3C
	s_add_u32 s82, s82, s61                                    // 00000000ACB4: 80523D52
	v_mul_lo_u32 v7, v4, s82                                   // 00000000ACB8: D2850007 0000A504
	v_add_u32_e32 v59, v6, v7                                  // 00000000ACC0: 68760F06
	v_readlane_b32 s82, v3, 8                                  // 00000000ACC4: D2890052 00011103
	s_lshr_b32 s61, s82, 24                                    // 00000000ACCC: 8F3D9852
	s_and_b32 s82, s82, 0xffffff                               // 00000000ACD0: 8652FF52 00FFFFFF
	s_mul_i32 s82, s82, s71                                    // 00000000ACD8: 92524752
	s_mul_i32 s61, s60, s61                                    // 00000000ACDC: 923D3D3C
	s_add_u32 s82, s82, s61                                    // 00000000ACE0: 80523D52
	v_mul_lo_u32 v6, v5, s82                                   // 00000000ACE4: D2850006 0000A505
	v_readlane_b32 s82, v3, 9                                  // 00000000ACEC: D2890052 00011303
	s_lshr_b32 s61, s82, 24                                    // 00000000ACF4: 8F3D9852
	s_and_b32 s82, s82, 0xffffff                               // 00000000ACF8: 8652FF52 00FFFFFF
	s_mul_i32 s82, s82, s71                                    // 00000000AD00: 92524752
	s_mul_i32 s61, s60, s61                                    // 00000000AD04: 923D3D3C
	s_add_u32 s82, s82, s61                                    // 00000000AD08: 80523D52
	v_mul_lo_u32 v7, v4, s82                                   // 00000000AD0C: D2850007 0000A504
	v_add_u32_e32 v60, v6, v7                                  // 00000000AD14: 68780F06
	v_readlane_b32 s82, v3, 10                                 // 00000000AD18: D2890052 00011503
	s_lshr_b32 s61, s82, 24                                    // 00000000AD20: 8F3D9852
	s_and_b32 s82, s82, 0xffffff                               // 00000000AD24: 8652FF52 00FFFFFF
	s_mul_i32 s82, s82, s71                                    // 00000000AD2C: 92524752
	s_mul_i32 s61, s60, s61                                    // 00000000AD30: 923D3D3C
	s_add_u32 s82, s82, s61                                    // 00000000AD34: 80523D52
	v_mul_lo_u32 v6, v5, s82                                   // 00000000AD38: D2850006 0000A505
	v_readlane_b32 s82, v3, 11                                 // 00000000AD40: D2890052 00011703
	s_lshr_b32 s61, s82, 24                                    // 00000000AD48: 8F3D9852
	s_and_b32 s82, s82, 0xffffff                               // 00000000AD4C: 8652FF52 00FFFFFF
	s_mul_i32 s82, s82, s71                                    // 00000000AD54: 92524752
	s_mul_i32 s61, s60, s61                                    // 00000000AD58: 923D3D3C
	s_add_u32 s82, s82, s61                                    // 00000000AD5C: 80523D52
	v_mul_lo_u32 v7, v4, s82                                   // 00000000AD60: D2850007 0000A504
	v_add_u32_e32 v61, v6, v7                                  // 00000000AD68: 687A0F06
	v_readlane_b32 s82, v3, 12                                 // 00000000AD6C: D2890052 00011903
	s_lshr_b32 s61, s82, 24                                    // 00000000AD74: 8F3D9852
	s_and_b32 s82, s82, 0xffffff                               // 00000000AD78: 8652FF52 00FFFFFF
	s_mul_i32 s82, s82, s71                                    // 00000000AD80: 92524752
	s_mul_i32 s61, s60, s61                                    // 00000000AD84: 923D3D3C
	s_add_u32 s82, s82, s61                                    // 00000000AD88: 80523D52
	v_mul_lo_u32 v6, v5, s82                                   // 00000000AD8C: D2850006 0000A505
	v_readlane_b32 s82, v3, 13                                 // 00000000AD94: D2890052 00011B03
	s_lshr_b32 s61, s82, 24                                    // 00000000AD9C: 8F3D9852
	s_and_b32 s82, s82, 0xffffff                               // 00000000ADA0: 8652FF52 00FFFFFF
	s_mul_i32 s82, s82, s71                                    // 00000000ADA8: 92524752
	s_mul_i32 s61, s60, s61                                    // 00000000ADAC: 923D3D3C
	s_add_u32 s82, s82, s61                                    // 00000000ADB0: 80523D52
	v_mul_lo_u32 v7, v4, s82                                   // 00000000ADB4: D2850007 0000A504
	v_add_u32_e32 v62, v6, v7                                  // 00000000ADBC: 687C0F06
	v_readlane_b32 s82, v3, 14                                 // 00000000ADC0: D2890052 00011D03
	s_lshr_b32 s61, s82, 24                                    // 00000000ADC8: 8F3D9852
	s_and_b32 s82, s82, 0xffffff                               // 00000000ADCC: 8652FF52 00FFFFFF
	s_mul_i32 s82, s82, s71                                    // 00000000ADD4: 92524752
	s_mul_i32 s61, s60, s61                                    // 00000000ADD8: 923D3D3C
	s_add_u32 s82, s82, s61                                    // 00000000ADDC: 80523D52
	v_mul_lo_u32 v6, v5, s82                                   // 00000000ADE0: D2850006 0000A505
	v_readlane_b32 s82, v3, 15                                 // 00000000ADE8: D2890052 00011F03
	s_lshr_b32 s61, s82, 24                                    // 00000000ADF0: 8F3D9852
	s_and_b32 s82, s82, 0xffffff                               // 00000000ADF4: 8652FF52 00FFFFFF
	s_mul_i32 s82, s82, s71                                    // 00000000ADFC: 92524752
	s_mul_i32 s61, s60, s61                                    // 00000000AE00: 923D3D3C
	s_add_u32 s82, s82, s61                                    // 00000000AE04: 80523D52
	v_mul_lo_u32 v7, v4, s82                                   // 00000000AE08: D2850007 0000A504
	v_add_u32_e32 v63, v6, v7                                  // 00000000AE10: 687E0F06
	v_readlane_b32 s82, v3, 16                                 // 00000000AE14: D2890052 00012103
	s_lshr_b32 s61, s82, 24                                    // 00000000AE1C: 8F3D9852
	s_and_b32 s82, s82, 0xffffff                               // 00000000AE20: 8652FF52 00FFFFFF
	s_mul_i32 s82, s82, s71                                    // 00000000AE28: 92524752
	s_mul_i32 s61, s60, s61                                    // 00000000AE2C: 923D3D3C
	s_add_u32 s82, s82, s61                                    // 00000000AE30: 80523D52
	v_mul_lo_u32 v6, v5, s82                                   // 00000000AE34: D2850006 0000A505
	v_readlane_b32 s82, v3, 17                                 // 00000000AE3C: D2890052 00012303
	s_lshr_b32 s61, s82, 24                                    // 00000000AE44: 8F3D9852
	s_and_b32 s82, s82, 0xffffff                               // 00000000AE48: 8652FF52 00FFFFFF
	s_mul_i32 s82, s82, s71                                    // 00000000AE50: 92524752
	s_mul_i32 s61, s60, s61                                    // 00000000AE54: 923D3D3C
	s_add_u32 s82, s82, s61                                    // 00000000AE58: 80523D52
	v_mul_lo_u32 v7, v4, s82                                   // 00000000AE5C: D2850007 0000A504
	v_add_u32_e32 v64, v6, v7                                  // 00000000AE64: 68800F06
	v_readlane_b32 s82, v3, 18                                 // 00000000AE68: D2890052 00012503
	s_lshr_b32 s61, s82, 24                                    // 00000000AE70: 8F3D9852
	s_and_b32 s82, s82, 0xffffff                               // 00000000AE74: 8652FF52 00FFFFFF
	s_mul_i32 s82, s82, s71                                    // 00000000AE7C: 92524752
	s_mul_i32 s61, s60, s61                                    // 00000000AE80: 923D3D3C
	s_add_u32 s82, s82, s61                                    // 00000000AE84: 80523D52
	v_mul_lo_u32 v6, v5, s82                                   // 00000000AE88: D2850006 0000A505
	v_readlane_b32 s82, v3, 19                                 // 00000000AE90: D2890052 00012703
	s_lshr_b32 s61, s82, 24                                    // 00000000AE98: 8F3D9852
	s_and_b32 s82, s82, 0xffffff                               // 00000000AE9C: 8652FF52 00FFFFFF
	s_mul_i32 s82, s82, s71                                    // 00000000AEA4: 92524752
	s_mul_i32 s61, s60, s61                                    // 00000000AEA8: 923D3D3C
	s_add_u32 s82, s82, s61                                    // 00000000AEAC: 80523D52
	v_mul_lo_u32 v7, v4, s82                                   // 00000000AEB0: D2850007 0000A504
	v_add_u32_e32 v65, v6, v7                                  // 00000000AEB8: 68820F06
	v_readlane_b32 s82, v3, 20                                 // 00000000AEBC: D2890052 00012903
	s_lshr_b32 s61, s82, 24                                    // 00000000AEC4: 8F3D9852
	s_and_b32 s82, s82, 0xffffff                               // 00000000AEC8: 8652FF52 00FFFFFF
	s_mul_i32 s82, s82, s71                                    // 00000000AED0: 92524752
	s_mul_i32 s61, s60, s61                                    // 00000000AED4: 923D3D3C
	s_add_u32 s82, s82, s61                                    // 00000000AED8: 80523D52
	v_mul_lo_u32 v6, v5, s82                                   // 00000000AEDC: D2850006 0000A505
	v_readlane_b32 s82, v3, 21                                 // 00000000AEE4: D2890052 00012B03
	s_lshr_b32 s61, s82, 24                                    // 00000000AEEC: 8F3D9852
	s_and_b32 s82, s82, 0xffffff                               // 00000000AEF0: 8652FF52 00FFFFFF
	s_mul_i32 s82, s82, s71                                    // 00000000AEF8: 92524752
	s_mul_i32 s61, s60, s61                                    // 00000000AEFC: 923D3D3C
	s_add_u32 s82, s82, s61                                    // 00000000AF00: 80523D52
	v_mul_lo_u32 v7, v4, s82                                   // 00000000AF04: D2850007 0000A504
	v_add_u32_e32 v66, v6, v7                                  // 00000000AF0C: 68840F06
	v_readlane_b32 s82, v3, 22                                 // 00000000AF10: D2890052 00012D03
	s_lshr_b32 s61, s82, 24                                    // 00000000AF18: 8F3D9852
	s_and_b32 s82, s82, 0xffffff                               // 00000000AF1C: 8652FF52 00FFFFFF
	s_mul_i32 s82, s82, s71                                    // 00000000AF24: 92524752
	s_mul_i32 s61, s60, s61                                    // 00000000AF28: 923D3D3C
	s_add_u32 s82, s82, s61                                    // 00000000AF2C: 80523D52
	v_mul_lo_u32 v6, v5, s82                                   // 00000000AF30: D2850006 0000A505
	v_readlane_b32 s82, v3, 23                                 // 00000000AF38: D2890052 00012F03
	s_lshr_b32 s61, s82, 24                                    // 00000000AF40: 8F3D9852
	s_and_b32 s82, s82, 0xffffff                               // 00000000AF44: 8652FF52 00FFFFFF
	s_mul_i32 s82, s82, s71                                    // 00000000AF4C: 92524752
	s_mul_i32 s61, s60, s61                                    // 00000000AF50: 923D3D3C
	s_add_u32 s82, s82, s61                                    // 00000000AF54: 80523D52
	v_mul_lo_u32 v7, v4, s82                                   // 00000000AF58: D2850007 0000A504
	v_add_u32_e32 v67, v6, v7                                  // 00000000AF60: 68860F06
	v_readlane_b32 s82, v3, 24                                 // 00000000AF64: D2890052 00013103
	s_lshr_b32 s61, s82, 24                                    // 00000000AF6C: 8F3D9852
	s_and_b32 s82, s82, 0xffffff                               // 00000000AF70: 8652FF52 00FFFFFF
	s_mul_i32 s82, s82, s71                                    // 00000000AF78: 92524752
	s_mul_i32 s61, s60, s61                                    // 00000000AF7C: 923D3D3C
	s_add_u32 s82, s82, s61                                    // 00000000AF80: 80523D52
	v_mul_lo_u32 v6, v5, s82                                   // 00000000AF84: D2850006 0000A505
	v_readlane_b32 s82, v3, 25                                 // 00000000AF8C: D2890052 00013303
	s_lshr_b32 s61, s82, 24                                    // 00000000AF94: 8F3D9852
	s_and_b32 s82, s82, 0xffffff                               // 00000000AF98: 8652FF52 00FFFFFF
	s_mul_i32 s82, s82, s71                                    // 00000000AFA0: 92524752
	s_mul_i32 s61, s60, s61                                    // 00000000AFA4: 923D3D3C
	s_add_u32 s82, s82, s61                                    // 00000000AFA8: 80523D52
	v_mul_lo_u32 v7, v4, s82                                   // 00000000AFAC: D2850007 0000A504
	v_add_u32_e32 v68, v6, v7                                  // 00000000AFB4: 68880F06
	v_readlane_b32 s82, v3, 26                                 // 00000000AFB8: D2890052 00013503
	s_lshr_b32 s61, s82, 24                                    // 00000000AFC0: 8F3D9852
	s_and_b32 s82, s82, 0xffffff                               // 00000000AFC4: 8652FF52 00FFFFFF
	s_mul_i32 s82, s82, s71                                    // 00000000AFCC: 92524752
	s_mul_i32 s61, s60, s61                                    // 00000000AFD0: 923D3D3C
	s_add_u32 s82, s82, s61                                    // 00000000AFD4: 80523D52
	v_mul_lo_u32 v6, v5, s82                                   // 00000000AFD8: D2850006 0000A505
	v_readlane_b32 s82, v3, 27                                 // 00000000AFE0: D2890052 00013703
	s_lshr_b32 s61, s82, 24                                    // 00000000AFE8: 8F3D9852
	s_and_b32 s82, s82, 0xffffff                               // 00000000AFEC: 8652FF52 00FFFFFF
	s_mul_i32 s82, s82, s71                                    // 00000000AFF4: 92524752
	s_mul_i32 s61, s60, s61                                    // 00000000AFF8: 923D3D3C
	s_add_u32 s82, s82, s61                                    // 00000000AFFC: 80523D52
	v_mul_lo_u32 v7, v4, s82                                   // 00000000B000: D2850007 0000A504
	v_add_u32_e32 v69, v6, v7                                  // 00000000B008: 688A0F06
	v_and_b32_e32 v4, 31, v0                                   // 00000000B00C: 2608009F
	v_lshrrev_b32_e32 v4, 1, v4                                // 00000000B010: 20080881
	s_cmp_eq_u32 s88, 0                                        // 00000000B014: BF068058
	s_cselect_b32 s61, 2, 4                                    // 00000000B018: 853D8482
	v_mul_lo_u32 v4, v4, s61                                   // 00000000B01C: D2850004 00007B04
	v_and_b32_e64 v5, v0, 1                                    // 00000000B024: D1130005 00010300
	v_add_u32_e32 v4, v4, v5                                   // 00000000B02C: 68080B04
	v_lshlrev_b32_e32 v4, 2, v4                                // 00000000B030: 24080882
	v_add_u32_e32 v56, v56, v4                                 // 00000000B034: 68700938
	v_add_u32_e32 v57, v57, v4                                 // 00000000B038: 68720939
	v_add_u32_e32 v58, v58, v4                                 // 00000000B03C: 6874093A
	v_add_u32_e32 v59, v59, v4                                 // 00000000B040: 6876093B
	v_add_u32_e32 v60, v60, v4                                 // 00000000B044: 6878093C
	v_add_u32_e32 v61, v61, v4                                 // 00000000B048: 687A093D
	v_add_u32_e32 v62, v62, v4                                 // 00000000B04C: 687C093E
	v_add_u32_e32 v63, v63, v4                                 // 00000000B050: 687E093F
	v_add_u32_e32 v64, v64, v4                                 // 00000000B054: 68800940
	v_add_u32_e32 v65, v65, v4                                 // 00000000B058: 68820941
	v_add_u32_e32 v66, v66, v4                                 // 00000000B05C: 68840942
	v_add_u32_e32 v67, v67, v4                                 // 00000000B060: 68860943
	v_add_u32_e32 v68, v68, v4                                 // 00000000B064: 68880944
	v_add_u32_e32 v69, v69, v4                                 // 00000000B068: 688A0945
	s_waitcnt lgkmcnt(0)                                       // 00000000B06C: BF8CC07F
	s_barrier                                                  // 00000000B070: BF8A0000
	ds_read_b32 v72, v21                                       // 00000000B074: D86C0000 48000015
	ds_read_b32 v73, v21 offset:64                             // 00000000B07C: D86C0040 49000015
	ds_read_b32 v74, v21 offset:2176                           // 00000000B084: D86C0880 4A000015
	ds_read_b32 v75, v21 offset:2240                           // 00000000B08C: D86C08C0 4B000015
	ds_read_b32 v76, v21 offset:4352                           // 00000000B094: D86C1100 4C000015
	ds_read_b32 v77, v21 offset:4416                           // 00000000B09C: D86C1140 4D000015
	ds_read_b32 v78, v21 offset:6528                           // 00000000B0A4: D86C1980 4E000015
	ds_read_b32 v79, v21 offset:6592                           // 00000000B0AC: D86C19C0 4F000015
	ds_read_b32 v80, v21 offset:8704                           // 00000000B0B4: D86C2200 50000015
	ds_read_b32 v81, v21 offset:8768                           // 00000000B0BC: D86C2240 51000015
	ds_read_b32 v82, v21 offset:10880                          // 00000000B0C4: D86C2A80 52000015
	ds_read_b32 v83, v21 offset:10944                          // 00000000B0CC: D86C2AC0 53000015
	ds_read_b32 v84, v21 offset:13056                          // 00000000B0D4: D86C3300 54000015
	ds_read_b32 v85, v21 offset:13120                          // 00000000B0DC: D86C3340 55000015
	ds_read_b32 v86, v21 offset:15232                          // 00000000B0E4: D86C3B80 56000015
	ds_read_b32 v87, v21 offset:15296                          // 00000000B0EC: D86C3BC0 57000015
	ds_read_b32 v88, v21 offset:17408                          // 00000000B0F4: D86C4400 58000015
	ds_read_b32 v89, v21 offset:17472                          // 00000000B0FC: D86C4440 59000015
	ds_read_b32 v90, v21 offset:19584                          // 00000000B104: D86C4C80 5A000015
	ds_read_b32 v91, v21 offset:19648                          // 00000000B10C: D86C4CC0 5B000015
	ds_read_b32 v92, v21 offset:21760                          // 00000000B114: D86C5500 5C000015
	ds_read_b32 v93, v21 offset:21824                          // 00000000B11C: D86C5540 5D000015
	ds_read_b32 v94, v21 offset:23936                          // 00000000B124: D86C5D80 5E000015
	ds_read_b32 v95, v21 offset:24000                          // 00000000B12C: D86C5DC0 5F000015
	ds_read_b32 v96, v21 offset:26112                          // 00000000B134: D86C6600 60000015
	ds_read_b32 v97, v21 offset:26176                          // 00000000B13C: D86C6640 61000015
	ds_read_b32 v98, v21 offset:28288                          // 00000000B144: D86C6E80 62000015
	ds_read_b32 v99, v21 offset:28352                          // 00000000B14C: D86C6EC0 63000015
	s_waitcnt lgkmcnt(0)                                       // 00000000B154: BF8CC07F
	s_mov_b32 s36, -1                                          // 00000000B158: BEA400C1
	s_mov_b32 s37, -1                                          // 00000000B15C: BEA500C1
	v_mov_b32_e32 v7, 0                                        // 00000000B160: 7E0E0280
	s_or_b32 s9, s9, 0x40000                                   // 00000000B164: 8709FF09 00040000
	s_mov_b64 exec, s[36:37]                                   // 00000000B16C: BEFE0124
	v_mov_b32_e32 v6, v56                                      // 00000000B170: 7E0C0338
	s_mov_b64 s[60:61], 0                                      // 00000000B174: BEBC0180
	v_readlane_b32 s82, v3, 0                                  // 00000000B178: D2890052 00010103
	s_and_b32 s82, s82, 0xffffff                               // 00000000B180: 8652FF52 00FFFFFF
	s_cmp_lt_u32 s82, s66                                      // 00000000B188: BF0A4252
	s_cselect_b32 s20, s36, s60                                // 00000000B18C: 85143C24
	v_readlane_b32 s82, v3, 1                                  // 00000000B190: D2890052 00010303
	s_and_b32 s82, s82, 0xffffff                               // 00000000B198: 8652FF52 00FFFFFF
	s_cmp_lt_u32 s82, s66                                      // 00000000B1A0: BF0A4252
	s_cselect_b32 s21, s36, s60                                // 00000000B1A4: 85153C24
	s_mov_b64 exec, s[20:21]                                   // 00000000B1A8: BEFE0114
	buffer_store_dword v72, v6, s[8:11], 0 offen               // 00000000B1AC: E0701000 80024806
	buffer_store_dword v74, v6, s[8:11], 0 offen offset:128    // 00000000B1B4: E0701080 80024A06
	s_mov_b64 exec, s[36:37]                                   // 00000000B1BC: BEFE0124
	v_mov_b32_e32 v6, v57                                      // 00000000B1C0: 7E0C0339
	s_mov_b64 s[60:61], 0                                      // 00000000B1C4: BEBC0180
	v_readlane_b32 s82, v3, 2                                  // 00000000B1C8: D2890052 00010503
	s_and_b32 s82, s82, 0xffffff                               // 00000000B1D0: 8652FF52 00FFFFFF
	s_cmp_lt_u32 s82, s66                                      // 00000000B1D8: BF0A4252
	s_cselect_b32 s20, s36, s60                                // 00000000B1DC: 85143C24
	v_readlane_b32 s82, v3, 3                                  // 00000000B1E0: D2890052 00010703
	s_and_b32 s82, s82, 0xffffff                               // 00000000B1E8: 8652FF52 00FFFFFF
	s_cmp_lt_u32 s82, s66                                      // 00000000B1F0: BF0A4252
	s_cselect_b32 s21, s36, s60                                // 00000000B1F4: 85153C24
	s_mov_b64 exec, s[20:21]                                   // 00000000B1F8: BEFE0114
	buffer_store_dword v73, v6, s[8:11], 0 offen               // 00000000B1FC: E0701000 80024906
	buffer_store_dword v75, v6, s[8:11], 0 offen offset:128    // 00000000B204: E0701080 80024B06
	s_mov_b64 exec, s[36:37]                                   // 00000000B20C: BEFE0124
	v_mov_b32_e32 v6, v58                                      // 00000000B210: 7E0C033A
	s_mov_b64 s[60:61], 0                                      // 00000000B214: BEBC0180
	v_readlane_b32 s82, v3, 4                                  // 00000000B218: D2890052 00010903
	s_and_b32 s82, s82, 0xffffff                               // 00000000B220: 8652FF52 00FFFFFF
	s_cmp_lt_u32 s82, s66                                      // 00000000B228: BF0A4252
	s_cselect_b32 s20, s36, s60                                // 00000000B22C: 85143C24
	v_readlane_b32 s82, v3, 5                                  // 00000000B230: D2890052 00010B03
	s_and_b32 s82, s82, 0xffffff                               // 00000000B238: 8652FF52 00FFFFFF
	s_cmp_lt_u32 s82, s66                                      // 00000000B240: BF0A4252
	s_cselect_b32 s21, s36, s60                                // 00000000B244: 85153C24
	s_mov_b64 exec, s[20:21]                                   // 00000000B248: BEFE0114
	buffer_store_dword v76, v6, s[8:11], 0 offen               // 00000000B24C: E0701000 80024C06
	buffer_store_dword v78, v6, s[8:11], 0 offen offset:128    // 00000000B254: E0701080 80024E06
	s_mov_b64 exec, s[36:37]                                   // 00000000B25C: BEFE0124
	v_mov_b32_e32 v6, v59                                      // 00000000B260: 7E0C033B
	s_mov_b64 s[60:61], 0                                      // 00000000B264: BEBC0180
	v_readlane_b32 s82, v3, 6                                  // 00000000B268: D2890052 00010D03
	s_and_b32 s82, s82, 0xffffff                               // 00000000B270: 8652FF52 00FFFFFF
	s_cmp_lt_u32 s82, s66                                      // 00000000B278: BF0A4252
	s_cselect_b32 s20, s36, s60                                // 00000000B27C: 85143C24
	v_readlane_b32 s82, v3, 7                                  // 00000000B280: D2890052 00010F03
	s_and_b32 s82, s82, 0xffffff                               // 00000000B288: 8652FF52 00FFFFFF
	s_cmp_lt_u32 s82, s66                                      // 00000000B290: BF0A4252
	s_cselect_b32 s21, s36, s60                                // 00000000B294: 85153C24
	s_mov_b64 exec, s[20:21]                                   // 00000000B298: BEFE0114
	buffer_store_dword v77, v6, s[8:11], 0 offen               // 00000000B29C: E0701000 80024D06
	buffer_store_dword v79, v6, s[8:11], 0 offen offset:128    // 00000000B2A4: E0701080 80024F06
	s_mov_b64 exec, s[36:37]                                   // 00000000B2AC: BEFE0124
	v_mov_b32_e32 v6, v60                                      // 00000000B2B0: 7E0C033C
	s_mov_b64 s[60:61], 0                                      // 00000000B2B4: BEBC0180
	v_readlane_b32 s82, v3, 8                                  // 00000000B2B8: D2890052 00011103
	s_and_b32 s82, s82, 0xffffff                               // 00000000B2C0: 8652FF52 00FFFFFF
	s_cmp_lt_u32 s82, s66                                      // 00000000B2C8: BF0A4252
	s_cselect_b32 s20, s36, s60                                // 00000000B2CC: 85143C24
	v_readlane_b32 s82, v3, 9                                  // 00000000B2D0: D2890052 00011303
	s_and_b32 s82, s82, 0xffffff                               // 00000000B2D8: 8652FF52 00FFFFFF
	s_cmp_lt_u32 s82, s66                                      // 00000000B2E0: BF0A4252
	s_cselect_b32 s21, s36, s60                                // 00000000B2E4: 85153C24
	s_mov_b64 exec, s[20:21]                                   // 00000000B2E8: BEFE0114
	buffer_store_dword v80, v6, s[8:11], 0 offen               // 00000000B2EC: E0701000 80025006
	buffer_store_dword v82, v6, s[8:11], 0 offen offset:128    // 00000000B2F4: E0701080 80025206
	s_mov_b64 exec, s[36:37]                                   // 00000000B2FC: BEFE0124
	v_mov_b32_e32 v6, v61                                      // 00000000B300: 7E0C033D
	s_mov_b64 s[60:61], 0                                      // 00000000B304: BEBC0180
	v_readlane_b32 s82, v3, 10                                 // 00000000B308: D2890052 00011503
	s_and_b32 s82, s82, 0xffffff                               // 00000000B310: 8652FF52 00FFFFFF
	s_cmp_lt_u32 s82, s66                                      // 00000000B318: BF0A4252
	s_cselect_b32 s20, s36, s60                                // 00000000B31C: 85143C24
	v_readlane_b32 s82, v3, 11                                 // 00000000B320: D2890052 00011703
	s_and_b32 s82, s82, 0xffffff                               // 00000000B328: 8652FF52 00FFFFFF
	s_cmp_lt_u32 s82, s66                                      // 00000000B330: BF0A4252
	s_cselect_b32 s21, s36, s60                                // 00000000B334: 85153C24
	s_mov_b64 exec, s[20:21]                                   // 00000000B338: BEFE0114
	buffer_store_dword v81, v6, s[8:11], 0 offen               // 00000000B33C: E0701000 80025106
	buffer_store_dword v83, v6, s[8:11], 0 offen offset:128    // 00000000B344: E0701080 80025306
	s_mov_b64 exec, s[36:37]                                   // 00000000B34C: BEFE0124
	v_mov_b32_e32 v6, v62                                      // 00000000B350: 7E0C033E
	s_mov_b64 s[60:61], 0                                      // 00000000B354: BEBC0180
	v_readlane_b32 s82, v3, 12                                 // 00000000B358: D2890052 00011903
	s_and_b32 s82, s82, 0xffffff                               // 00000000B360: 8652FF52 00FFFFFF
	s_cmp_lt_u32 s82, s66                                      // 00000000B368: BF0A4252
	s_cselect_b32 s20, s36, s60                                // 00000000B36C: 85143C24
	v_readlane_b32 s82, v3, 13                                 // 00000000B370: D2890052 00011B03
	s_and_b32 s82, s82, 0xffffff                               // 00000000B378: 8652FF52 00FFFFFF
	s_cmp_lt_u32 s82, s66                                      // 00000000B380: BF0A4252
	s_cselect_b32 s21, s36, s60                                // 00000000B384: 85153C24
	s_mov_b64 exec, s[20:21]                                   // 00000000B388: BEFE0114
	buffer_store_dword v84, v6, s[8:11], 0 offen               // 00000000B38C: E0701000 80025406
	buffer_store_dword v86, v6, s[8:11], 0 offen offset:128    // 00000000B394: E0701080 80025606
	s_mov_b64 exec, s[36:37]                                   // 00000000B39C: BEFE0124
	v_mov_b32_e32 v6, v63                                      // 00000000B3A0: 7E0C033F
	s_mov_b64 s[60:61], 0                                      // 00000000B3A4: BEBC0180
	v_readlane_b32 s82, v3, 14                                 // 00000000B3A8: D2890052 00011D03
	s_and_b32 s82, s82, 0xffffff                               // 00000000B3B0: 8652FF52 00FFFFFF
	s_cmp_lt_u32 s82, s66                                      // 00000000B3B8: BF0A4252
	s_cselect_b32 s20, s36, s60                                // 00000000B3BC: 85143C24
	v_readlane_b32 s82, v3, 15                                 // 00000000B3C0: D2890052 00011F03
	s_and_b32 s82, s82, 0xffffff                               // 00000000B3C8: 8652FF52 00FFFFFF
	s_cmp_lt_u32 s82, s66                                      // 00000000B3D0: BF0A4252
	s_cselect_b32 s21, s36, s60                                // 00000000B3D4: 85153C24
	s_mov_b64 exec, s[20:21]                                   // 00000000B3D8: BEFE0114
	buffer_store_dword v85, v6, s[8:11], 0 offen               // 00000000B3DC: E0701000 80025506
	buffer_store_dword v87, v6, s[8:11], 0 offen offset:128    // 00000000B3E4: E0701080 80025706
	s_mov_b64 exec, s[36:37]                                   // 00000000B3EC: BEFE0124
	v_mov_b32_e32 v6, v64                                      // 00000000B3F0: 7E0C0340
	s_mov_b64 s[60:61], 0                                      // 00000000B3F4: BEBC0180
	v_readlane_b32 s82, v3, 16                                 // 00000000B3F8: D2890052 00012103
	s_and_b32 s82, s82, 0xffffff                               // 00000000B400: 8652FF52 00FFFFFF
	s_cmp_lt_u32 s82, s66                                      // 00000000B408: BF0A4252
	s_cselect_b32 s20, s36, s60                                // 00000000B40C: 85143C24
	v_readlane_b32 s82, v3, 17                                 // 00000000B410: D2890052 00012303
	s_and_b32 s82, s82, 0xffffff                               // 00000000B418: 8652FF52 00FFFFFF
	s_cmp_lt_u32 s82, s66                                      // 00000000B420: BF0A4252
	s_cselect_b32 s21, s36, s60                                // 00000000B424: 85153C24
	s_mov_b64 exec, s[20:21]                                   // 00000000B428: BEFE0114
	buffer_store_dword v88, v6, s[8:11], 0 offen               // 00000000B42C: E0701000 80025806
	buffer_store_dword v90, v6, s[8:11], 0 offen offset:128    // 00000000B434: E0701080 80025A06
	s_mov_b64 exec, s[36:37]                                   // 00000000B43C: BEFE0124
	v_mov_b32_e32 v6, v65                                      // 00000000B440: 7E0C0341
	s_mov_b64 s[60:61], 0                                      // 00000000B444: BEBC0180
	v_readlane_b32 s82, v3, 18                                 // 00000000B448: D2890052 00012503
	s_and_b32 s82, s82, 0xffffff                               // 00000000B450: 8652FF52 00FFFFFF
	s_cmp_lt_u32 s82, s66                                      // 00000000B458: BF0A4252
	s_cselect_b32 s20, s36, s60                                // 00000000B45C: 85143C24
	v_readlane_b32 s82, v3, 19                                 // 00000000B460: D2890052 00012703
	s_and_b32 s82, s82, 0xffffff                               // 00000000B468: 8652FF52 00FFFFFF
	s_cmp_lt_u32 s82, s66                                      // 00000000B470: BF0A4252
	s_cselect_b32 s21, s36, s60                                // 00000000B474: 85153C24
	s_mov_b64 exec, s[20:21]                                   // 00000000B478: BEFE0114
	buffer_store_dword v89, v6, s[8:11], 0 offen               // 00000000B47C: E0701000 80025906
	buffer_store_dword v91, v6, s[8:11], 0 offen offset:128    // 00000000B484: E0701080 80025B06
	s_mov_b64 exec, s[36:37]                                   // 00000000B48C: BEFE0124
	v_mov_b32_e32 v6, v66                                      // 00000000B490: 7E0C0342
	s_mov_b64 s[60:61], 0                                      // 00000000B494: BEBC0180
	v_readlane_b32 s82, v3, 20                                 // 00000000B498: D2890052 00012903
	s_and_b32 s82, s82, 0xffffff                               // 00000000B4A0: 8652FF52 00FFFFFF
	s_cmp_lt_u32 s82, s66                                      // 00000000B4A8: BF0A4252
	s_cselect_b32 s20, s36, s60                                // 00000000B4AC: 85143C24
	v_readlane_b32 s82, v3, 21                                 // 00000000B4B0: D2890052 00012B03
	s_and_b32 s82, s82, 0xffffff                               // 00000000B4B8: 8652FF52 00FFFFFF
	s_cmp_lt_u32 s82, s66                                      // 00000000B4C0: BF0A4252
	s_cselect_b32 s21, s36, s60                                // 00000000B4C4: 85153C24
	s_mov_b64 exec, s[20:21]                                   // 00000000B4C8: BEFE0114
	buffer_store_dword v92, v6, s[8:11], 0 offen               // 00000000B4CC: E0701000 80025C06
	buffer_store_dword v94, v6, s[8:11], 0 offen offset:128    // 00000000B4D4: E0701080 80025E06
	s_mov_b64 exec, s[36:37]                                   // 00000000B4DC: BEFE0124
	v_mov_b32_e32 v6, v67                                      // 00000000B4E0: 7E0C0343
	s_mov_b64 s[60:61], 0                                      // 00000000B4E4: BEBC0180
	v_readlane_b32 s82, v3, 22                                 // 00000000B4E8: D2890052 00012D03
	s_and_b32 s82, s82, 0xffffff                               // 00000000B4F0: 8652FF52 00FFFFFF
	s_cmp_lt_u32 s82, s66                                      // 00000000B4F8: BF0A4252
	s_cselect_b32 s20, s36, s60                                // 00000000B4FC: 85143C24
	v_readlane_b32 s82, v3, 23                                 // 00000000B500: D2890052 00012F03
	s_and_b32 s82, s82, 0xffffff                               // 00000000B508: 8652FF52 00FFFFFF
	s_cmp_lt_u32 s82, s66                                      // 00000000B510: BF0A4252
	s_cselect_b32 s21, s36, s60                                // 00000000B514: 85153C24
	s_mov_b64 exec, s[20:21]                                   // 00000000B518: BEFE0114
	buffer_store_dword v93, v6, s[8:11], 0 offen               // 00000000B51C: E0701000 80025D06
	buffer_store_dword v95, v6, s[8:11], 0 offen offset:128    // 00000000B524: E0701080 80025F06
	s_mov_b64 exec, s[36:37]                                   // 00000000B52C: BEFE0124
	v_mov_b32_e32 v6, v68                                      // 00000000B530: 7E0C0344
	s_mov_b64 s[60:61], 0                                      // 00000000B534: BEBC0180
	v_readlane_b32 s82, v3, 24                                 // 00000000B538: D2890052 00013103
	s_and_b32 s82, s82, 0xffffff                               // 00000000B540: 8652FF52 00FFFFFF
	s_cmp_lt_u32 s82, s66                                      // 00000000B548: BF0A4252
	s_cselect_b32 s20, s36, s60                                // 00000000B54C: 85143C24
	v_readlane_b32 s82, v3, 25                                 // 00000000B550: D2890052 00013303
	s_and_b32 s82, s82, 0xffffff                               // 00000000B558: 8652FF52 00FFFFFF
	s_cmp_lt_u32 s82, s66                                      // 00000000B560: BF0A4252
	s_cselect_b32 s21, s36, s60                                // 00000000B564: 85153C24
	s_mov_b64 exec, s[20:21]                                   // 00000000B568: BEFE0114
	buffer_store_dword v96, v6, s[8:11], 0 offen               // 00000000B56C: E0701000 80026006
	buffer_store_dword v98, v6, s[8:11], 0 offen offset:128    // 00000000B574: E0701080 80026206
	s_mov_b64 exec, s[36:37]                                   // 00000000B57C: BEFE0124
	v_mov_b32_e32 v6, v69                                      // 00000000B580: 7E0C0345
	s_mov_b64 s[60:61], 0                                      // 00000000B584: BEBC0180
	v_readlane_b32 s82, v3, 26                                 // 00000000B588: D2890052 00013503
	s_and_b32 s82, s82, 0xffffff                               // 00000000B590: 8652FF52 00FFFFFF
	s_cmp_lt_u32 s82, s66                                      // 00000000B598: BF0A4252
	s_cselect_b32 s20, s36, s60                                // 00000000B59C: 85143C24
	v_readlane_b32 s82, v3, 27                                 // 00000000B5A0: D2890052 00013703
	s_and_b32 s82, s82, 0xffffff                               // 00000000B5A8: 8652FF52 00FFFFFF
	s_cmp_lt_u32 s82, s66                                      // 00000000B5B0: BF0A4252
	s_cselect_b32 s21, s36, s60                                // 00000000B5B4: 85153C24
	s_mov_b64 exec, s[20:21]                                   // 00000000B5B8: BEFE0114
	buffer_store_dword v97, v6, s[8:11], 0 offen               // 00000000B5BC: E0701000 80026106
	buffer_store_dword v99, v6, s[8:11], 0 offen offset:128    // 00000000B5C4: E0701080 80026306
	s_mov_b64 exec, s[36:37]                                   // 00000000B5CC: BEFE0124
	s_branch label_2A06                                        // 00000000B5D0: BF82070E

000000000000b5d4 <label_22F8>:
	ds_write_b64 v20, v[72:73]                                 // 00000000B5D4: D89A0000 00004814
	ds_write_b64 v20, v[76:77] offset:4352                     // 00000000B5DC: D89A1100 00004C14
	ds_write_b64 v20, v[80:81] offset:8704                     // 00000000B5E4: D89A2200 00005014
	ds_write_b64 v20, v[84:85] offset:13056                    // 00000000B5EC: D89A3300 00005414
	ds_write_b64 v20, v[88:89] offset:17408                    // 00000000B5F4: D89A4400 00005814
	ds_write_b64 v20, v[92:93] offset:21760                    // 00000000B5FC: D89A5500 00005C14
	ds_write_b64 v20, v[96:97] offset:26112                    // 00000000B604: D89A6600 00006014
	ds_write_b64 v20, v[100:101] offset:2176                   // 00000000B60C: D89A0880 00006414
	ds_write_b64 v20, v[104:105] offset:6528                   // 00000000B614: D89A1980 00006814
	ds_write_b64 v20, v[108:109] offset:10880                  // 00000000B61C: D89A2A80 00006C14
	ds_write_b64 v20, v[112:113] offset:15232                  // 00000000B624: D89A3B80 00007014
	ds_write_b64 v20, v[116:117] offset:19584                  // 00000000B62C: D89A4C80 00007414
	ds_write_b64 v20, v[120:121] offset:23936                  // 00000000B634: D89A5D80 00007814
	ds_write_b64 v20, v[124:125] offset:28288                  // 00000000B63C: D89A6E80 00007C14
	v_lshrrev_b32_e32 v4, 5, v0                                // 00000000B644: 20080085
	v_xor_b32_e32 v5, 1, v4                                    // 00000000B648: 2A0A0881
	s_mul_i32 s60, s65, 2                                      // 00000000B64C: 923C8241
	s_cmp_eq_u32 s88, 0                                        // 00000000B650: BF068058
	s_cselect_b32 s61, 1, 4                                    // 00000000B654: 853D8481
	s_mul_i32 s60, s61, s60                                    // 00000000B658: 923C3C3D
	v_readlane_b32 s82, v3, 0                                  // 00000000B65C: D2890052 00010103
	s_lshr_b32 s61, s82, 24                                    // 00000000B664: 8F3D9852
	s_and_b32 s82, s82, 0xffffff                               // 00000000B668: 8652FF52 00FFFFFF
	s_mul_i32 s82, s82, s71                                    // 00000000B670: 92524752
	s_mul_i32 s61, s60, s61                                    // 00000000B674: 923D3D3C
	s_add_u32 s82, s82, s61                                    // 00000000B678: 80523D52
	v_mul_lo_u32 v6, v5, s82                                   // 00000000B67C: D2850006 0000A505
	v_readlane_b32 s82, v3, 1                                  // 00000000B684: D2890052 00010303
	s_lshr_b32 s61, s82, 24                                    // 00000000B68C: 8F3D9852
	s_and_b32 s82, s82, 0xffffff                               // 00000000B690: 8652FF52 00FFFFFF
	s_mul_i32 s82, s82, s71                                    // 00000000B698: 92524752
	s_mul_i32 s61, s60, s61                                    // 00000000B69C: 923D3D3C
	s_add_u32 s82, s82, s61                                    // 00000000B6A0: 80523D52
	v_mul_lo_u32 v7, v4, s82                                   // 00000000B6A4: D2850007 0000A504
	v_add_u32_e32 v56, v6, v7                                  // 00000000B6AC: 68700F06
	v_readlane_b32 s82, v3, 2                                  // 00000000B6B0: D2890052 00010503
	s_lshr_b32 s61, s82, 24                                    // 00000000B6B8: 8F3D9852
	s_and_b32 s82, s82, 0xffffff                               // 00000000B6BC: 8652FF52 00FFFFFF
	s_mul_i32 s82, s82, s71                                    // 00000000B6C4: 92524752
	s_mul_i32 s61, s60, s61                                    // 00000000B6C8: 923D3D3C
	s_add_u32 s82, s82, s61                                    // 00000000B6CC: 80523D52
	v_mul_lo_u32 v6, v5, s82                                   // 00000000B6D0: D2850006 0000A505
	v_readlane_b32 s82, v3, 3                                  // 00000000B6D8: D2890052 00010703
	s_lshr_b32 s61, s82, 24                                    // 00000000B6E0: 8F3D9852
	s_and_b32 s82, s82, 0xffffff                               // 00000000B6E4: 8652FF52 00FFFFFF
	s_mul_i32 s82, s82, s71                                    // 00000000B6EC: 92524752
	s_mul_i32 s61, s60, s61                                    // 00000000B6F0: 923D3D3C
	s_add_u32 s82, s82, s61                                    // 00000000B6F4: 80523D52
	v_mul_lo_u32 v7, v4, s82                                   // 00000000B6F8: D2850007 0000A504
	v_add_u32_e32 v57, v6, v7                                  // 00000000B700: 68720F06
	v_readlane_b32 s82, v3, 4                                  // 00000000B704: D2890052 00010903
	s_lshr_b32 s61, s82, 24                                    // 00000000B70C: 8F3D9852
	s_and_b32 s82, s82, 0xffffff                               // 00000000B710: 8652FF52 00FFFFFF
	s_mul_i32 s82, s82, s71                                    // 00000000B718: 92524752
	s_mul_i32 s61, s60, s61                                    // 00000000B71C: 923D3D3C
	s_add_u32 s82, s82, s61                                    // 00000000B720: 80523D52
	v_mul_lo_u32 v6, v5, s82                                   // 00000000B724: D2850006 0000A505
	v_readlane_b32 s82, v3, 5                                  // 00000000B72C: D2890052 00010B03
	s_lshr_b32 s61, s82, 24                                    // 00000000B734: 8F3D9852
	s_and_b32 s82, s82, 0xffffff                               // 00000000B738: 8652FF52 00FFFFFF
	s_mul_i32 s82, s82, s71                                    // 00000000B740: 92524752
	s_mul_i32 s61, s60, s61                                    // 00000000B744: 923D3D3C
	s_add_u32 s82, s82, s61                                    // 00000000B748: 80523D52
	v_mul_lo_u32 v7, v4, s82                                   // 00000000B74C: D2850007 0000A504
	v_add_u32_e32 v58, v6, v7                                  // 00000000B754: 68740F06
	v_readlane_b32 s82, v3, 6                                  // 00000000B758: D2890052 00010D03
	s_lshr_b32 s61, s82, 24                                    // 00000000B760: 8F3D9852
	s_and_b32 s82, s82, 0xffffff                               // 00000000B764: 8652FF52 00FFFFFF
	s_mul_i32 s82, s82, s71                                    // 00000000B76C: 92524752
	s_mul_i32 s61, s60, s61                                    // 00000000B770: 923D3D3C
	s_add_u32 s82, s82, s61                                    // 00000000B774: 80523D52
	v_mul_lo_u32 v6, v5, s82                                   // 00000000B778: D2850006 0000A505
	v_readlane_b32 s82, v3, 7                                  // 00000000B780: D2890052 00010F03
	s_lshr_b32 s61, s82, 24                                    // 00000000B788: 8F3D9852
	s_and_b32 s82, s82, 0xffffff                               // 00000000B78C: 8652FF52 00FFFFFF
	s_mul_i32 s82, s82, s71                                    // 00000000B794: 92524752
	s_mul_i32 s61, s60, s61                                    // 00000000B798: 923D3D3C
	s_add_u32 s82, s82, s61                                    // 00000000B79C: 80523D52
	v_mul_lo_u32 v7, v4, s82                                   // 00000000B7A0: D2850007 0000A504
	v_add_u32_e32 v59, v6, v7                                  // 00000000B7A8: 68760F06
	v_readlane_b32 s82, v3, 8                                  // 00000000B7AC: D2890052 00011103
	s_lshr_b32 s61, s82, 24                                    // 00000000B7B4: 8F3D9852
	s_and_b32 s82, s82, 0xffffff                               // 00000000B7B8: 8652FF52 00FFFFFF
	s_mul_i32 s82, s82, s71                                    // 00000000B7C0: 92524752
	s_mul_i32 s61, s60, s61                                    // 00000000B7C4: 923D3D3C
	s_add_u32 s82, s82, s61                                    // 00000000B7C8: 80523D52
	v_mul_lo_u32 v6, v5, s82                                   // 00000000B7CC: D2850006 0000A505
	v_readlane_b32 s82, v3, 9                                  // 00000000B7D4: D2890052 00011303
	s_lshr_b32 s61, s82, 24                                    // 00000000B7DC: 8F3D9852
	s_and_b32 s82, s82, 0xffffff                               // 00000000B7E0: 8652FF52 00FFFFFF
	s_mul_i32 s82, s82, s71                                    // 00000000B7E8: 92524752
	s_mul_i32 s61, s60, s61                                    // 00000000B7EC: 923D3D3C
	s_add_u32 s82, s82, s61                                    // 00000000B7F0: 80523D52
	v_mul_lo_u32 v7, v4, s82                                   // 00000000B7F4: D2850007 0000A504
	v_add_u32_e32 v60, v6, v7                                  // 00000000B7FC: 68780F06
	v_readlane_b32 s82, v3, 10                                 // 00000000B800: D2890052 00011503
	s_lshr_b32 s61, s82, 24                                    // 00000000B808: 8F3D9852
	s_and_b32 s82, s82, 0xffffff                               // 00000000B80C: 8652FF52 00FFFFFF
	s_mul_i32 s82, s82, s71                                    // 00000000B814: 92524752
	s_mul_i32 s61, s60, s61                                    // 00000000B818: 923D3D3C
	s_add_u32 s82, s82, s61                                    // 00000000B81C: 80523D52
	v_mul_lo_u32 v6, v5, s82                                   // 00000000B820: D2850006 0000A505
	v_readlane_b32 s82, v3, 11                                 // 00000000B828: D2890052 00011703
	s_lshr_b32 s61, s82, 24                                    // 00000000B830: 8F3D9852
	s_and_b32 s82, s82, 0xffffff                               // 00000000B834: 8652FF52 00FFFFFF
	s_mul_i32 s82, s82, s71                                    // 00000000B83C: 92524752
	s_mul_i32 s61, s60, s61                                    // 00000000B840: 923D3D3C
	s_add_u32 s82, s82, s61                                    // 00000000B844: 80523D52
	v_mul_lo_u32 v7, v4, s82                                   // 00000000B848: D2850007 0000A504
	v_add_u32_e32 v61, v6, v7                                  // 00000000B850: 687A0F06
	v_readlane_b32 s82, v3, 12                                 // 00000000B854: D2890052 00011903
	s_lshr_b32 s61, s82, 24                                    // 00000000B85C: 8F3D9852
	s_and_b32 s82, s82, 0xffffff                               // 00000000B860: 8652FF52 00FFFFFF
	s_mul_i32 s82, s82, s71                                    // 00000000B868: 92524752
	s_mul_i32 s61, s60, s61                                    // 00000000B86C: 923D3D3C
	s_add_u32 s82, s82, s61                                    // 00000000B870: 80523D52
	v_mul_lo_u32 v6, v5, s82                                   // 00000000B874: D2850006 0000A505
	v_readlane_b32 s82, v3, 13                                 // 00000000B87C: D2890052 00011B03
	s_lshr_b32 s61, s82, 24                                    // 00000000B884: 8F3D9852
	s_and_b32 s82, s82, 0xffffff                               // 00000000B888: 8652FF52 00FFFFFF
	s_mul_i32 s82, s82, s71                                    // 00000000B890: 92524752
	s_mul_i32 s61, s60, s61                                    // 00000000B894: 923D3D3C
	s_add_u32 s82, s82, s61                                    // 00000000B898: 80523D52
	v_mul_lo_u32 v7, v4, s82                                   // 00000000B89C: D2850007 0000A504
	v_add_u32_e32 v62, v6, v7                                  // 00000000B8A4: 687C0F06
	v_readlane_b32 s82, v3, 14                                 // 00000000B8A8: D2890052 00011D03
	s_lshr_b32 s61, s82, 24                                    // 00000000B8B0: 8F3D9852
	s_and_b32 s82, s82, 0xffffff                               // 00000000B8B4: 8652FF52 00FFFFFF
	s_mul_i32 s82, s82, s71                                    // 00000000B8BC: 92524752
	s_mul_i32 s61, s60, s61                                    // 00000000B8C0: 923D3D3C
	s_add_u32 s82, s82, s61                                    // 00000000B8C4: 80523D52
	v_mul_lo_u32 v6, v5, s82                                   // 00000000B8C8: D2850006 0000A505
	v_readlane_b32 s82, v3, 15                                 // 00000000B8D0: D2890052 00011F03
	s_lshr_b32 s61, s82, 24                                    // 00000000B8D8: 8F3D9852
	s_and_b32 s82, s82, 0xffffff                               // 00000000B8DC: 8652FF52 00FFFFFF
	s_mul_i32 s82, s82, s71                                    // 00000000B8E4: 92524752
	s_mul_i32 s61, s60, s61                                    // 00000000B8E8: 923D3D3C
	s_add_u32 s82, s82, s61                                    // 00000000B8EC: 80523D52
	v_mul_lo_u32 v7, v4, s82                                   // 00000000B8F0: D2850007 0000A504
	v_add_u32_e32 v63, v6, v7                                  // 00000000B8F8: 687E0F06
	v_readlane_b32 s82, v3, 16                                 // 00000000B8FC: D2890052 00012103
	s_lshr_b32 s61, s82, 24                                    // 00000000B904: 8F3D9852
	s_and_b32 s82, s82, 0xffffff                               // 00000000B908: 8652FF52 00FFFFFF
	s_mul_i32 s82, s82, s71                                    // 00000000B910: 92524752
	s_mul_i32 s61, s60, s61                                    // 00000000B914: 923D3D3C
	s_add_u32 s82, s82, s61                                    // 00000000B918: 80523D52
	v_mul_lo_u32 v6, v5, s82                                   // 00000000B91C: D2850006 0000A505
	v_readlane_b32 s82, v3, 17                                 // 00000000B924: D2890052 00012303
	s_lshr_b32 s61, s82, 24                                    // 00000000B92C: 8F3D9852
	s_and_b32 s82, s82, 0xffffff                               // 00000000B930: 8652FF52 00FFFFFF
	s_mul_i32 s82, s82, s71                                    // 00000000B938: 92524752
	s_mul_i32 s61, s60, s61                                    // 00000000B93C: 923D3D3C
	s_add_u32 s82, s82, s61                                    // 00000000B940: 80523D52
	v_mul_lo_u32 v7, v4, s82                                   // 00000000B944: D2850007 0000A504
	v_add_u32_e32 v64, v6, v7                                  // 00000000B94C: 68800F06
	v_readlane_b32 s82, v3, 18                                 // 00000000B950: D2890052 00012503
	s_lshr_b32 s61, s82, 24                                    // 00000000B958: 8F3D9852
	s_and_b32 s82, s82, 0xffffff                               // 00000000B95C: 8652FF52 00FFFFFF
	s_mul_i32 s82, s82, s71                                    // 00000000B964: 92524752
	s_mul_i32 s61, s60, s61                                    // 00000000B968: 923D3D3C
	s_add_u32 s82, s82, s61                                    // 00000000B96C: 80523D52
	v_mul_lo_u32 v6, v5, s82                                   // 00000000B970: D2850006 0000A505
	v_readlane_b32 s82, v3, 19                                 // 00000000B978: D2890052 00012703
	s_lshr_b32 s61, s82, 24                                    // 00000000B980: 8F3D9852
	s_and_b32 s82, s82, 0xffffff                               // 00000000B984: 8652FF52 00FFFFFF
	s_mul_i32 s82, s82, s71                                    // 00000000B98C: 92524752
	s_mul_i32 s61, s60, s61                                    // 00000000B990: 923D3D3C
	s_add_u32 s82, s82, s61                                    // 00000000B994: 80523D52
	v_mul_lo_u32 v7, v4, s82                                   // 00000000B998: D2850007 0000A504
	v_add_u32_e32 v65, v6, v7                                  // 00000000B9A0: 68820F06
	v_readlane_b32 s82, v3, 20                                 // 00000000B9A4: D2890052 00012903
	s_lshr_b32 s61, s82, 24                                    // 00000000B9AC: 8F3D9852
	s_and_b32 s82, s82, 0xffffff                               // 00000000B9B0: 8652FF52 00FFFFFF
	s_mul_i32 s82, s82, s71                                    // 00000000B9B8: 92524752
	s_mul_i32 s61, s60, s61                                    // 00000000B9BC: 923D3D3C
	s_add_u32 s82, s82, s61                                    // 00000000B9C0: 80523D52
	v_mul_lo_u32 v6, v5, s82                                   // 00000000B9C4: D2850006 0000A505
	v_readlane_b32 s82, v3, 21                                 // 00000000B9CC: D2890052 00012B03
	s_lshr_b32 s61, s82, 24                                    // 00000000B9D4: 8F3D9852
	s_and_b32 s82, s82, 0xffffff                               // 00000000B9D8: 8652FF52 00FFFFFF
	s_mul_i32 s82, s82, s71                                    // 00000000B9E0: 92524752
	s_mul_i32 s61, s60, s61                                    // 00000000B9E4: 923D3D3C
	s_add_u32 s82, s82, s61                                    // 00000000B9E8: 80523D52
	v_mul_lo_u32 v7, v4, s82                                   // 00000000B9EC: D2850007 0000A504
	v_add_u32_e32 v66, v6, v7                                  // 00000000B9F4: 68840F06
	v_readlane_b32 s82, v3, 22                                 // 00000000B9F8: D2890052 00012D03
	s_lshr_b32 s61, s82, 24                                    // 00000000BA00: 8F3D9852
	s_and_b32 s82, s82, 0xffffff                               // 00000000BA04: 8652FF52 00FFFFFF
	s_mul_i32 s82, s82, s71                                    // 00000000BA0C: 92524752
	s_mul_i32 s61, s60, s61                                    // 00000000BA10: 923D3D3C
	s_add_u32 s82, s82, s61                                    // 00000000BA14: 80523D52
	v_mul_lo_u32 v6, v5, s82                                   // 00000000BA18: D2850006 0000A505
	v_readlane_b32 s82, v3, 23                                 // 00000000BA20: D2890052 00012F03
	s_lshr_b32 s61, s82, 24                                    // 00000000BA28: 8F3D9852
	s_and_b32 s82, s82, 0xffffff                               // 00000000BA2C: 8652FF52 00FFFFFF
	s_mul_i32 s82, s82, s71                                    // 00000000BA34: 92524752
	s_mul_i32 s61, s60, s61                                    // 00000000BA38: 923D3D3C
	s_add_u32 s82, s82, s61                                    // 00000000BA3C: 80523D52
	v_mul_lo_u32 v7, v4, s82                                   // 00000000BA40: D2850007 0000A504
	v_add_u32_e32 v67, v6, v7                                  // 00000000BA48: 68860F06
	v_readlane_b32 s82, v3, 24                                 // 00000000BA4C: D2890052 00013103
	s_lshr_b32 s61, s82, 24                                    // 00000000BA54: 8F3D9852
	s_and_b32 s82, s82, 0xffffff                               // 00000000BA58: 8652FF52 00FFFFFF
	s_mul_i32 s82, s82, s71                                    // 00000000BA60: 92524752
	s_mul_i32 s61, s60, s61                                    // 00000000BA64: 923D3D3C
	s_add_u32 s82, s82, s61                                    // 00000000BA68: 80523D52
	v_mul_lo_u32 v6, v5, s82                                   // 00000000BA6C: D2850006 0000A505
	v_readlane_b32 s82, v3, 25                                 // 00000000BA74: D2890052 00013303
	s_lshr_b32 s61, s82, 24                                    // 00000000BA7C: 8F3D9852
	s_and_b32 s82, s82, 0xffffff                               // 00000000BA80: 8652FF52 00FFFFFF
	s_mul_i32 s82, s82, s71                                    // 00000000BA88: 92524752
	s_mul_i32 s61, s60, s61                                    // 00000000BA8C: 923D3D3C
	s_add_u32 s82, s82, s61                                    // 00000000BA90: 80523D52
	v_mul_lo_u32 v7, v4, s82                                   // 00000000BA94: D2850007 0000A504
	v_add_u32_e32 v68, v6, v7                                  // 00000000BA9C: 68880F06
	v_readlane_b32 s82, v3, 26                                 // 00000000BAA0: D2890052 00013503
	s_lshr_b32 s61, s82, 24                                    // 00000000BAA8: 8F3D9852
	s_and_b32 s82, s82, 0xffffff                               // 00000000BAAC: 8652FF52 00FFFFFF
	s_mul_i32 s82, s82, s71                                    // 00000000BAB4: 92524752
	s_mul_i32 s61, s60, s61                                    // 00000000BAB8: 923D3D3C
	s_add_u32 s82, s82, s61                                    // 00000000BABC: 80523D52
	v_mul_lo_u32 v6, v5, s82                                   // 00000000BAC0: D2850006 0000A505
	v_readlane_b32 s82, v3, 27                                 // 00000000BAC8: D2890052 00013703
	s_lshr_b32 s61, s82, 24                                    // 00000000BAD0: 8F3D9852
	s_and_b32 s82, s82, 0xffffff                               // 00000000BAD4: 8652FF52 00FFFFFF
	s_mul_i32 s82, s82, s71                                    // 00000000BADC: 92524752
	s_mul_i32 s61, s60, s61                                    // 00000000BAE0: 923D3D3C
	s_add_u32 s82, s82, s61                                    // 00000000BAE4: 80523D52
	v_mul_lo_u32 v7, v4, s82                                   // 00000000BAE8: D2850007 0000A504
	v_add_u32_e32 v69, v6, v7                                  // 00000000BAF0: 688A0F06
	v_and_b32_e32 v4, 31, v0                                   // 00000000BAF4: 2608009F
	v_lshrrev_b32_e32 v4, 1, v4                                // 00000000BAF8: 20080881
	s_cmp_eq_u32 s88, 0                                        // 00000000BAFC: BF068058
	s_cselect_b32 s61, 2, 4                                    // 00000000BB00: 853D8482
	v_mul_lo_u32 v4, v4, s61                                   // 00000000BB04: D2850004 00007B04
	v_and_b32_e64 v5, v0, 1                                    // 00000000BB0C: D1130005 00010300
	v_add_u32_e32 v4, v4, v5                                   // 00000000BB14: 68080B04
	v_lshlrev_b32_e32 v4, 2, v4                                // 00000000BB18: 24080882
	v_add_u32_e32 v56, v56, v4                                 // 00000000BB1C: 68700938
	v_add_u32_e32 v57, v57, v4                                 // 00000000BB20: 68720939
	v_add_u32_e32 v58, v58, v4                                 // 00000000BB24: 6874093A
	v_add_u32_e32 v59, v59, v4                                 // 00000000BB28: 6876093B
	v_add_u32_e32 v60, v60, v4                                 // 00000000BB2C: 6878093C
	v_add_u32_e32 v61, v61, v4                                 // 00000000BB30: 687A093D
	v_add_u32_e32 v62, v62, v4                                 // 00000000BB34: 687C093E
	v_add_u32_e32 v63, v63, v4                                 // 00000000BB38: 687E093F
	v_add_u32_e32 v64, v64, v4                                 // 00000000BB3C: 68800940
	v_add_u32_e32 v65, v65, v4                                 // 00000000BB40: 68820941
	v_add_u32_e32 v66, v66, v4                                 // 00000000BB44: 68840942
	v_add_u32_e32 v67, v67, v4                                 // 00000000BB48: 68860943
	v_add_u32_e32 v68, v68, v4                                 // 00000000BB4C: 68880944
	v_add_u32_e32 v69, v69, v4                                 // 00000000BB50: 688A0945
	s_waitcnt lgkmcnt(0)                                       // 00000000BB54: BF8CC07F
	s_barrier                                                  // 00000000BB58: BF8A0000
	ds_read_b32 v72, v21                                       // 00000000BB5C: D86C0000 48000015
	ds_read_b32 v73, v21 offset:64                             // 00000000BB64: D86C0040 49000015
	ds_read_b32 v76, v21 offset:2176                           // 00000000BB6C: D86C0880 4C000015
	ds_read_b32 v77, v21 offset:2240                           // 00000000BB74: D86C08C0 4D000015
	ds_read_b32 v80, v21 offset:4352                           // 00000000BB7C: D86C1100 50000015
	ds_read_b32 v81, v21 offset:4416                           // 00000000BB84: D86C1140 51000015
	ds_read_b32 v84, v21 offset:6528                           // 00000000BB8C: D86C1980 54000015
	ds_read_b32 v85, v21 offset:6592                           // 00000000BB94: D86C19C0 55000015
	ds_read_b32 v88, v21 offset:8704                           // 00000000BB9C: D86C2200 58000015
	ds_read_b32 v89, v21 offset:8768                           // 00000000BBA4: D86C2240 59000015
	ds_read_b32 v92, v21 offset:10880                          // 00000000BBAC: D86C2A80 5C000015
	ds_read_b32 v93, v21 offset:10944                          // 00000000BBB4: D86C2AC0 5D000015
	ds_read_b32 v96, v21 offset:13056                          // 00000000BBBC: D86C3300 60000015
	ds_read_b32 v97, v21 offset:13120                          // 00000000BBC4: D86C3340 61000015
	ds_read_b32 v100, v21 offset:15232                         // 00000000BBCC: D86C3B80 64000015
	ds_read_b32 v101, v21 offset:15296                         // 00000000BBD4: D86C3BC0 65000015
	ds_read_b32 v104, v21 offset:17408                         // 00000000BBDC: D86C4400 68000015
	ds_read_b32 v105, v21 offset:17472                         // 00000000BBE4: D86C4440 69000015
	ds_read_b32 v108, v21 offset:19584                         // 00000000BBEC: D86C4C80 6C000015
	ds_read_b32 v109, v21 offset:19648                         // 00000000BBF4: D86C4CC0 6D000015
	ds_read_b32 v112, v21 offset:21760                         // 00000000BBFC: D86C5500 70000015
	ds_read_b32 v113, v21 offset:21824                         // 00000000BC04: D86C5540 71000015
	ds_read_b32 v116, v21 offset:23936                         // 00000000BC0C: D86C5D80 74000015
	ds_read_b32 v117, v21 offset:24000                         // 00000000BC14: D86C5DC0 75000015
	ds_read_b32 v120, v21 offset:26112                         // 00000000BC1C: D86C6600 78000015
	ds_read_b32 v121, v21 offset:26176                         // 00000000BC24: D86C6640 79000015
	ds_read_b32 v124, v21 offset:28288                         // 00000000BC2C: D86C6E80 7C000015
	ds_read_b32 v125, v21 offset:28352                         // 00000000BC34: D86C6EC0 7D000015
	s_waitcnt lgkmcnt(0)                                       // 00000000BC3C: BF8CC07F
	s_mov_b32 s36, -1                                          // 00000000BC40: BEA400C1
	s_mov_b32 s37, -1                                          // 00000000BC44: BEA500C1
	v_mov_b32_e32 v7, 0                                        // 00000000BC48: 7E0E0280
	s_mov_b64 exec, s[36:37]                                   // 00000000BC4C: BEFE0124
	v_mov_b32_e32 v6, v56                                      // 00000000BC50: 7E0C0338
	s_mov_b64 s[60:61], 0                                      // 00000000BC54: BEBC0180
	v_readlane_b32 s82, v3, 0                                  // 00000000BC58: D2890052 00010103
	s_and_b32 s82, s82, 0xffffff                               // 00000000BC60: 8652FF52 00FFFFFF
	s_cmp_lt_u32 s82, s66                                      // 00000000BC68: BF0A4252
	s_cselect_b32 s20, s36, s60                                // 00000000BC6C: 85143C24
	v_readlane_b32 s82, v3, 1                                  // 00000000BC70: D2890052 00010303
	s_and_b32 s82, s82, 0xffffff                               // 00000000BC78: 8652FF52 00FFFFFF
	s_cmp_lt_u32 s82, s66                                      // 00000000BC80: BF0A4252
	s_cselect_b32 s21, s36, s60                                // 00000000BC84: 85153C24
	s_mov_b64 exec, s[20:21]                                   // 00000000BC88: BEFE0114
	global_atomic_add_f32 v6, v72, s[8:9]                      // 00000000BC8C: DD348000 00084806
	global_atomic_add_f32 v6, v76, s[8:9] offset:256           // 00000000BC94: DD348100 00084C06
	s_mov_b64 exec, s[36:37]                                   // 00000000BC9C: BEFE0124
	v_mov_b32_e32 v6, v57                                      // 00000000BCA0: 7E0C0339
	s_mov_b64 s[60:61], 0                                      // 00000000BCA4: BEBC0180
	v_readlane_b32 s82, v3, 2                                  // 00000000BCA8: D2890052 00010503
	s_and_b32 s82, s82, 0xffffff                               // 00000000BCB0: 8652FF52 00FFFFFF
	s_cmp_lt_u32 s82, s66                                      // 00000000BCB8: BF0A4252
	s_cselect_b32 s20, s36, s60                                // 00000000BCBC: 85143C24
	v_readlane_b32 s82, v3, 3                                  // 00000000BCC0: D2890052 00010703
	s_and_b32 s82, s82, 0xffffff                               // 00000000BCC8: 8652FF52 00FFFFFF
	s_cmp_lt_u32 s82, s66                                      // 00000000BCD0: BF0A4252
	s_cselect_b32 s21, s36, s60                                // 00000000BCD4: 85153C24
	s_mov_b64 exec, s[20:21]                                   // 00000000BCD8: BEFE0114
	global_atomic_add_f32 v6, v73, s[8:9]                      // 00000000BCDC: DD348000 00084906
	global_atomic_add_f32 v6, v77, s[8:9] offset:256           // 00000000BCE4: DD348100 00084D06
	s_mov_b64 exec, s[36:37]                                   // 00000000BCEC: BEFE0124
	v_mov_b32_e32 v6, v58                                      // 00000000BCF0: 7E0C033A
	s_mov_b64 s[60:61], 0                                      // 00000000BCF4: BEBC0180
	v_readlane_b32 s82, v3, 4                                  // 00000000BCF8: D2890052 00010903
	s_and_b32 s82, s82, 0xffffff                               // 00000000BD00: 8652FF52 00FFFFFF
	s_cmp_lt_u32 s82, s66                                      // 00000000BD08: BF0A4252
	s_cselect_b32 s20, s36, s60                                // 00000000BD0C: 85143C24
	v_readlane_b32 s82, v3, 5                                  // 00000000BD10: D2890052 00010B03
	s_and_b32 s82, s82, 0xffffff                               // 00000000BD18: 8652FF52 00FFFFFF
	s_cmp_lt_u32 s82, s66                                      // 00000000BD20: BF0A4252
	s_cselect_b32 s21, s36, s60                                // 00000000BD24: 85153C24
	s_mov_b64 exec, s[20:21]                                   // 00000000BD28: BEFE0114
	global_atomic_add_f32 v6, v80, s[8:9]                      // 00000000BD2C: DD348000 00085006
	global_atomic_add_f32 v6, v84, s[8:9] offset:256           // 00000000BD34: DD348100 00085406
	s_mov_b64 exec, s[36:37]                                   // 00000000BD3C: BEFE0124
	v_mov_b32_e32 v6, v59                                      // 00000000BD40: 7E0C033B
	s_mov_b64 s[60:61], 0                                      // 00000000BD44: BEBC0180
	v_readlane_b32 s82, v3, 6                                  // 00000000BD48: D2890052 00010D03
	s_and_b32 s82, s82, 0xffffff                               // 00000000BD50: 8652FF52 00FFFFFF
	s_cmp_lt_u32 s82, s66                                      // 00000000BD58: BF0A4252
	s_cselect_b32 s20, s36, s60                                // 00000000BD5C: 85143C24
	v_readlane_b32 s82, v3, 7                                  // 00000000BD60: D2890052 00010F03
	s_and_b32 s82, s82, 0xffffff                               // 00000000BD68: 8652FF52 00FFFFFF
	s_cmp_lt_u32 s82, s66                                      // 00000000BD70: BF0A4252
	s_cselect_b32 s21, s36, s60                                // 00000000BD74: 85153C24
	s_mov_b64 exec, s[20:21]                                   // 00000000BD78: BEFE0114
	global_atomic_add_f32 v6, v81, s[8:9]                      // 00000000BD7C: DD348000 00085106
	global_atomic_add_f32 v6, v85, s[8:9] offset:256           // 00000000BD84: DD348100 00085506
	s_mov_b64 exec, s[36:37]                                   // 00000000BD8C: BEFE0124
	v_mov_b32_e32 v6, v60                                      // 00000000BD90: 7E0C033C
	s_mov_b64 s[60:61], 0                                      // 00000000BD94: BEBC0180
	v_readlane_b32 s82, v3, 8                                  // 00000000BD98: D2890052 00011103
	s_and_b32 s82, s82, 0xffffff                               // 00000000BDA0: 8652FF52 00FFFFFF
	s_cmp_lt_u32 s82, s66                                      // 00000000BDA8: BF0A4252
	s_cselect_b32 s20, s36, s60                                // 00000000BDAC: 85143C24
	v_readlane_b32 s82, v3, 9                                  // 00000000BDB0: D2890052 00011303
	s_and_b32 s82, s82, 0xffffff                               // 00000000BDB8: 8652FF52 00FFFFFF
	s_cmp_lt_u32 s82, s66                                      // 00000000BDC0: BF0A4252
	s_cselect_b32 s21, s36, s60                                // 00000000BDC4: 85153C24
	s_mov_b64 exec, s[20:21]                                   // 00000000BDC8: BEFE0114
	global_atomic_add_f32 v6, v88, s[8:9]                      // 00000000BDCC: DD348000 00085806
	global_atomic_add_f32 v6, v92, s[8:9] offset:256           // 00000000BDD4: DD348100 00085C06
	s_mov_b64 exec, s[36:37]                                   // 00000000BDDC: BEFE0124
	v_mov_b32_e32 v6, v61                                      // 00000000BDE0: 7E0C033D
	s_mov_b64 s[60:61], 0                                      // 00000000BDE4: BEBC0180
	v_readlane_b32 s82, v3, 10                                 // 00000000BDE8: D2890052 00011503
	s_and_b32 s82, s82, 0xffffff                               // 00000000BDF0: 8652FF52 00FFFFFF
	s_cmp_lt_u32 s82, s66                                      // 00000000BDF8: BF0A4252
	s_cselect_b32 s20, s36, s60                                // 00000000BDFC: 85143C24
	v_readlane_b32 s82, v3, 11                                 // 00000000BE00: D2890052 00011703
	s_and_b32 s82, s82, 0xffffff                               // 00000000BE08: 8652FF52 00FFFFFF
	s_cmp_lt_u32 s82, s66                                      // 00000000BE10: BF0A4252
	s_cselect_b32 s21, s36, s60                                // 00000000BE14: 85153C24
	s_mov_b64 exec, s[20:21]                                   // 00000000BE18: BEFE0114
	global_atomic_add_f32 v6, v89, s[8:9]                      // 00000000BE1C: DD348000 00085906
	global_atomic_add_f32 v6, v93, s[8:9] offset:256           // 00000000BE24: DD348100 00085D06
	s_mov_b64 exec, s[36:37]                                   // 00000000BE2C: BEFE0124
	v_mov_b32_e32 v6, v62                                      // 00000000BE30: 7E0C033E
	s_mov_b64 s[60:61], 0                                      // 00000000BE34: BEBC0180
	v_readlane_b32 s82, v3, 12                                 // 00000000BE38: D2890052 00011903
	s_and_b32 s82, s82, 0xffffff                               // 00000000BE40: 8652FF52 00FFFFFF
	s_cmp_lt_u32 s82, s66                                      // 00000000BE48: BF0A4252
	s_cselect_b32 s20, s36, s60                                // 00000000BE4C: 85143C24
	v_readlane_b32 s82, v3, 13                                 // 00000000BE50: D2890052 00011B03
	s_and_b32 s82, s82, 0xffffff                               // 00000000BE58: 8652FF52 00FFFFFF
	s_cmp_lt_u32 s82, s66                                      // 00000000BE60: BF0A4252
	s_cselect_b32 s21, s36, s60                                // 00000000BE64: 85153C24
	s_mov_b64 exec, s[20:21]                                   // 00000000BE68: BEFE0114
	global_atomic_add_f32 v6, v96, s[8:9]                      // 00000000BE6C: DD348000 00086006
	global_atomic_add_f32 v6, v100, s[8:9] offset:256          // 00000000BE74: DD348100 00086406
	s_mov_b64 exec, s[36:37]                                   // 00000000BE7C: BEFE0124
	v_mov_b32_e32 v6, v63                                      // 00000000BE80: 7E0C033F
	s_mov_b64 s[60:61], 0                                      // 00000000BE84: BEBC0180
	v_readlane_b32 s82, v3, 14                                 // 00000000BE88: D2890052 00011D03
	s_and_b32 s82, s82, 0xffffff                               // 00000000BE90: 8652FF52 00FFFFFF
	s_cmp_lt_u32 s82, s66                                      // 00000000BE98: BF0A4252
	s_cselect_b32 s20, s36, s60                                // 00000000BE9C: 85143C24
	v_readlane_b32 s82, v3, 15                                 // 00000000BEA0: D2890052 00011F03
	s_and_b32 s82, s82, 0xffffff                               // 00000000BEA8: 8652FF52 00FFFFFF
	s_cmp_lt_u32 s82, s66                                      // 00000000BEB0: BF0A4252
	s_cselect_b32 s21, s36, s60                                // 00000000BEB4: 85153C24
	s_mov_b64 exec, s[20:21]                                   // 00000000BEB8: BEFE0114
	global_atomic_add_f32 v6, v97, s[8:9]                      // 00000000BEBC: DD348000 00086106
	global_atomic_add_f32 v6, v101, s[8:9] offset:256          // 00000000BEC4: DD348100 00086506
	s_mov_b64 exec, s[36:37]                                   // 00000000BECC: BEFE0124
	v_mov_b32_e32 v6, v64                                      // 00000000BED0: 7E0C0340
	s_mov_b64 s[60:61], 0                                      // 00000000BED4: BEBC0180
	v_readlane_b32 s82, v3, 16                                 // 00000000BED8: D2890052 00012103
	s_and_b32 s82, s82, 0xffffff                               // 00000000BEE0: 8652FF52 00FFFFFF
	s_cmp_lt_u32 s82, s66                                      // 00000000BEE8: BF0A4252
	s_cselect_b32 s20, s36, s60                                // 00000000BEEC: 85143C24
	v_readlane_b32 s82, v3, 17                                 // 00000000BEF0: D2890052 00012303
	s_and_b32 s82, s82, 0xffffff                               // 00000000BEF8: 8652FF52 00FFFFFF
	s_cmp_lt_u32 s82, s66                                      // 00000000BF00: BF0A4252
	s_cselect_b32 s21, s36, s60                                // 00000000BF04: 85153C24
	s_mov_b64 exec, s[20:21]                                   // 00000000BF08: BEFE0114
	global_atomic_add_f32 v6, v104, s[8:9]                     // 00000000BF0C: DD348000 00086806
	global_atomic_add_f32 v6, v108, s[8:9] offset:256          // 00000000BF14: DD348100 00086C06
	s_mov_b64 exec, s[36:37]                                   // 00000000BF1C: BEFE0124
	v_mov_b32_e32 v6, v65                                      // 00000000BF20: 7E0C0341
	s_mov_b64 s[60:61], 0                                      // 00000000BF24: BEBC0180
	v_readlane_b32 s82, v3, 18                                 // 00000000BF28: D2890052 00012503
	s_and_b32 s82, s82, 0xffffff                               // 00000000BF30: 8652FF52 00FFFFFF
	s_cmp_lt_u32 s82, s66                                      // 00000000BF38: BF0A4252
	s_cselect_b32 s20, s36, s60                                // 00000000BF3C: 85143C24
	v_readlane_b32 s82, v3, 19                                 // 00000000BF40: D2890052 00012703
	s_and_b32 s82, s82, 0xffffff                               // 00000000BF48: 8652FF52 00FFFFFF
	s_cmp_lt_u32 s82, s66                                      // 00000000BF50: BF0A4252
	s_cselect_b32 s21, s36, s60                                // 00000000BF54: 85153C24
	s_mov_b64 exec, s[20:21]                                   // 00000000BF58: BEFE0114
	global_atomic_add_f32 v6, v105, s[8:9]                     // 00000000BF5C: DD348000 00086906
	global_atomic_add_f32 v6, v109, s[8:9] offset:256          // 00000000BF64: DD348100 00086D06
	s_mov_b64 exec, s[36:37]                                   // 00000000BF6C: BEFE0124
	v_mov_b32_e32 v6, v66                                      // 00000000BF70: 7E0C0342
	s_mov_b64 s[60:61], 0                                      // 00000000BF74: BEBC0180
	v_readlane_b32 s82, v3, 20                                 // 00000000BF78: D2890052 00012903
	s_and_b32 s82, s82, 0xffffff                               // 00000000BF80: 8652FF52 00FFFFFF
	s_cmp_lt_u32 s82, s66                                      // 00000000BF88: BF0A4252
	s_cselect_b32 s20, s36, s60                                // 00000000BF8C: 85143C24
	v_readlane_b32 s82, v3, 21                                 // 00000000BF90: D2890052 00012B03
	s_and_b32 s82, s82, 0xffffff                               // 00000000BF98: 8652FF52 00FFFFFF
	s_cmp_lt_u32 s82, s66                                      // 00000000BFA0: BF0A4252
	s_cselect_b32 s21, s36, s60                                // 00000000BFA4: 85153C24
	s_mov_b64 exec, s[20:21]                                   // 00000000BFA8: BEFE0114
	global_atomic_add_f32 v6, v112, s[8:9]                     // 00000000BFAC: DD348000 00087006
	global_atomic_add_f32 v6, v116, s[8:9] offset:256          // 00000000BFB4: DD348100 00087406
	s_mov_b64 exec, s[36:37]                                   // 00000000BFBC: BEFE0124
	v_mov_b32_e32 v6, v67                                      // 00000000BFC0: 7E0C0343
	s_mov_b64 s[60:61], 0                                      // 00000000BFC4: BEBC0180
	v_readlane_b32 s82, v3, 22                                 // 00000000BFC8: D2890052 00012D03
	s_and_b32 s82, s82, 0xffffff                               // 00000000BFD0: 8652FF52 00FFFFFF
	s_cmp_lt_u32 s82, s66                                      // 00000000BFD8: BF0A4252
	s_cselect_b32 s20, s36, s60                                // 00000000BFDC: 85143C24
	v_readlane_b32 s82, v3, 23                                 // 00000000BFE0: D2890052 00012F03
	s_and_b32 s82, s82, 0xffffff                               // 00000000BFE8: 8652FF52 00FFFFFF
	s_cmp_lt_u32 s82, s66                                      // 00000000BFF0: BF0A4252
	s_cselect_b32 s21, s36, s60                                // 00000000BFF4: 85153C24
	s_mov_b64 exec, s[20:21]                                   // 00000000BFF8: BEFE0114
	global_atomic_add_f32 v6, v113, s[8:9]                     // 00000000BFFC: DD348000 00087106
	global_atomic_add_f32 v6, v117, s[8:9] offset:256          // 00000000C004: DD348100 00087506
	s_mov_b64 exec, s[36:37]                                   // 00000000C00C: BEFE0124
	v_mov_b32_e32 v6, v68                                      // 00000000C010: 7E0C0344
	s_mov_b64 s[60:61], 0                                      // 00000000C014: BEBC0180
	v_readlane_b32 s82, v3, 24                                 // 00000000C018: D2890052 00013103
	s_and_b32 s82, s82, 0xffffff                               // 00000000C020: 8652FF52 00FFFFFF
	s_cmp_lt_u32 s82, s66                                      // 00000000C028: BF0A4252
	s_cselect_b32 s20, s36, s60                                // 00000000C02C: 85143C24
	v_readlane_b32 s82, v3, 25                                 // 00000000C030: D2890052 00013303
	s_and_b32 s82, s82, 0xffffff                               // 00000000C038: 8652FF52 00FFFFFF
	s_cmp_lt_u32 s82, s66                                      // 00000000C040: BF0A4252
	s_cselect_b32 s21, s36, s60                                // 00000000C044: 85153C24
	s_mov_b64 exec, s[20:21]                                   // 00000000C048: BEFE0114
	global_atomic_add_f32 v6, v120, s[8:9]                     // 00000000C04C: DD348000 00087806
	global_atomic_add_f32 v6, v124, s[8:9] offset:256          // 00000000C054: DD348100 00087C06
	s_mov_b64 exec, s[36:37]                                   // 00000000C05C: BEFE0124
	v_mov_b32_e32 v6, v69                                      // 00000000C060: 7E0C0345
	s_mov_b64 s[60:61], 0                                      // 00000000C064: BEBC0180
	v_readlane_b32 s82, v3, 26                                 // 00000000C068: D2890052 00013503
	s_and_b32 s82, s82, 0xffffff                               // 00000000C070: 8652FF52 00FFFFFF
	s_cmp_lt_u32 s82, s66                                      // 00000000C078: BF0A4252
	s_cselect_b32 s20, s36, s60                                // 00000000C07C: 85143C24
	v_readlane_b32 s82, v3, 27                                 // 00000000C080: D2890052 00013703
	s_and_b32 s82, s82, 0xffffff                               // 00000000C088: 8652FF52 00FFFFFF
	s_cmp_lt_u32 s82, s66                                      // 00000000C090: BF0A4252
	s_cselect_b32 s21, s36, s60                                // 00000000C094: 85153C24
	s_mov_b64 exec, s[20:21]                                   // 00000000C098: BEFE0114
	global_atomic_add_f32 v6, v121, s[8:9]                     // 00000000C09C: DD348000 00087906
	global_atomic_add_f32 v6, v125, s[8:9] offset:256          // 00000000C0A4: DD348100 00087D06
	s_mov_b64 exec, s[36:37]                                   // 00000000C0AC: BEFE0124
	ds_write_b64 v20, v[74:75]                                 // 00000000C0B0: D89A0000 00004A14
	ds_write_b64 v20, v[78:79] offset:4352                     // 00000000C0B8: D89A1100 00004E14
	ds_write_b64 v20, v[82:83] offset:8704                     // 00000000C0C0: D89A2200 00005214
	ds_write_b64 v20, v[86:87] offset:13056                    // 00000000C0C8: D89A3300 00005614
	ds_write_b64 v20, v[90:91] offset:17408                    // 00000000C0D0: D89A4400 00005A14
	ds_write_b64 v20, v[94:95] offset:21760                    // 00000000C0D8: D89A5500 00005E14
	ds_write_b64 v20, v[98:99] offset:26112                    // 00000000C0E0: D89A6600 00006214
	ds_write_b64 v20, v[102:103] offset:2176                   // 00000000C0E8: D89A0880 00006614
	ds_write_b64 v20, v[106:107] offset:6528                   // 00000000C0F0: D89A1980 00006A14
	ds_write_b64 v20, v[110:111] offset:10880                  // 00000000C0F8: D89A2A80 00006E14
	ds_write_b64 v20, v[114:115] offset:15232                  // 00000000C100: D89A3B80 00007214
	ds_write_b64 v20, v[118:119] offset:19584                  // 00000000C108: D89A4C80 00007614
	ds_write_b64 v20, v[122:123] offset:23936                  // 00000000C110: D89A5D80 00007A14
	ds_write_b64 v20, v[126:127] offset:28288                  // 00000000C118: D89A6E80 00007E14
	s_waitcnt lgkmcnt(0)                                       // 00000000C120: BF8CC07F
	s_barrier                                                  // 00000000C124: BF8A0000
	ds_read_b32 v74, v21                                       // 00000000C128: D86C0000 4A000015
	ds_read_b32 v75, v21 offset:64                             // 00000000C130: D86C0040 4B000015
	ds_read_b32 v78, v21 offset:2176                           // 00000000C138: D86C0880 4E000015
	ds_read_b32 v79, v21 offset:2240                           // 00000000C140: D86C08C0 4F000015
	ds_read_b32 v82, v21 offset:4352                           // 00000000C148: D86C1100 52000015
	ds_read_b32 v83, v21 offset:4416                           // 00000000C150: D86C1140 53000015
	ds_read_b32 v86, v21 offset:6528                           // 00000000C158: D86C1980 56000015
	ds_read_b32 v87, v21 offset:6592                           // 00000000C160: D86C19C0 57000015
	ds_read_b32 v90, v21 offset:8704                           // 00000000C168: D86C2200 5A000015
	ds_read_b32 v91, v21 offset:8768                           // 00000000C170: D86C2240 5B000015
	ds_read_b32 v94, v21 offset:10880                          // 00000000C178: D86C2A80 5E000015
	ds_read_b32 v95, v21 offset:10944                          // 00000000C180: D86C2AC0 5F000015
	ds_read_b32 v98, v21 offset:13056                          // 00000000C188: D86C3300 62000015
	ds_read_b32 v99, v21 offset:13120                          // 00000000C190: D86C3340 63000015
	ds_read_b32 v102, v21 offset:15232                         // 00000000C198: D86C3B80 66000015
	ds_read_b32 v103, v21 offset:15296                         // 00000000C1A0: D86C3BC0 67000015
	ds_read_b32 v106, v21 offset:17408                         // 00000000C1A8: D86C4400 6A000015
	ds_read_b32 v107, v21 offset:17472                         // 00000000C1B0: D86C4440 6B000015
	ds_read_b32 v110, v21 offset:19584                         // 00000000C1B8: D86C4C80 6E000015
	ds_read_b32 v111, v21 offset:19648                         // 00000000C1C0: D86C4CC0 6F000015
	ds_read_b32 v114, v21 offset:21760                         // 00000000C1C8: D86C5500 72000015
	ds_read_b32 v115, v21 offset:21824                         // 00000000C1D0: D86C5540 73000015
	ds_read_b32 v118, v21 offset:23936                         // 00000000C1D8: D86C5D80 76000015
	ds_read_b32 v119, v21 offset:24000                         // 00000000C1E0: D86C5DC0 77000015
	ds_read_b32 v122, v21 offset:26112                         // 00000000C1E8: D86C6600 7A000015
	ds_read_b32 v123, v21 offset:26176                         // 00000000C1F0: D86C6640 7B000015
	ds_read_b32 v126, v21 offset:28288                         // 00000000C1F8: D86C6E80 7E000015
	ds_read_b32 v127, v21 offset:28352                         // 00000000C200: D86C6EC0 7F000015
	s_waitcnt lgkmcnt(0)                                       // 00000000C208: BF8CC07F
	v_mov_b32_e32 v7, 0                                        // 00000000C20C: 7E0E0280
	s_mov_b64 exec, s[36:37]                                   // 00000000C210: BEFE0124
	v_mov_b32_e32 v6, v56                                      // 00000000C214: 7E0C0338
	s_mov_b64 s[60:61], 0                                      // 00000000C218: BEBC0180
	v_readlane_b32 s82, v3, 0                                  // 00000000C21C: D2890052 00010103
	s_and_b32 s82, s82, 0xffffff                               // 00000000C224: 8652FF52 00FFFFFF
	s_cmp_lt_u32 s82, s66                                      // 00000000C22C: BF0A4252
	s_cselect_b32 s20, s36, s60                                // 00000000C230: 85143C24
	v_readlane_b32 s82, v3, 1                                  // 00000000C234: D2890052 00010303
	s_and_b32 s82, s82, 0xffffff                               // 00000000C23C: 8652FF52 00FFFFFF
	s_cmp_lt_u32 s82, s66                                      // 00000000C244: BF0A4252
	s_cselect_b32 s21, s36, s60                                // 00000000C248: 85153C24
	s_mov_b64 exec, s[20:21]                                   // 00000000C24C: BEFE0114
	global_atomic_add_f32 v6, v74, s[8:9] offset:8             // 00000000C250: DD348008 00084A06
	global_atomic_add_f32 v6, v78, s[8:9] offset:264           // 00000000C258: DD348108 00084E06
	s_mov_b64 exec, s[36:37]                                   // 00000000C260: BEFE0124
	v_mov_b32_e32 v6, v57                                      // 00000000C264: 7E0C0339
	s_mov_b64 s[60:61], 0                                      // 00000000C268: BEBC0180
	v_readlane_b32 s82, v3, 2                                  // 00000000C26C: D2890052 00010503
	s_and_b32 s82, s82, 0xffffff                               // 00000000C274: 8652FF52 00FFFFFF
	s_cmp_lt_u32 s82, s66                                      // 00000000C27C: BF0A4252
	s_cselect_b32 s20, s36, s60                                // 00000000C280: 85143C24
	v_readlane_b32 s82, v3, 3                                  // 00000000C284: D2890052 00010703
	s_and_b32 s82, s82, 0xffffff                               // 00000000C28C: 8652FF52 00FFFFFF
	s_cmp_lt_u32 s82, s66                                      // 00000000C294: BF0A4252
	s_cselect_b32 s21, s36, s60                                // 00000000C298: 85153C24
	s_mov_b64 exec, s[20:21]                                   // 00000000C29C: BEFE0114
	global_atomic_add_f32 v6, v75, s[8:9] offset:8             // 00000000C2A0: DD348008 00084B06
	global_atomic_add_f32 v6, v79, s[8:9] offset:264           // 00000000C2A8: DD348108 00084F06
	s_mov_b64 exec, s[36:37]                                   // 00000000C2B0: BEFE0124
	v_mov_b32_e32 v6, v58                                      // 00000000C2B4: 7E0C033A
	s_mov_b64 s[60:61], 0                                      // 00000000C2B8: BEBC0180
	v_readlane_b32 s82, v3, 4                                  // 00000000C2BC: D2890052 00010903
	s_and_b32 s82, s82, 0xffffff                               // 00000000C2C4: 8652FF52 00FFFFFF
	s_cmp_lt_u32 s82, s66                                      // 00000000C2CC: BF0A4252
	s_cselect_b32 s20, s36, s60                                // 00000000C2D0: 85143C24
	v_readlane_b32 s82, v3, 5                                  // 00000000C2D4: D2890052 00010B03
	s_and_b32 s82, s82, 0xffffff                               // 00000000C2DC: 8652FF52 00FFFFFF
	s_cmp_lt_u32 s82, s66                                      // 00000000C2E4: BF0A4252
	s_cselect_b32 s21, s36, s60                                // 00000000C2E8: 85153C24
	s_mov_b64 exec, s[20:21]                                   // 00000000C2EC: BEFE0114
	global_atomic_add_f32 v6, v82, s[8:9] offset:8             // 00000000C2F0: DD348008 00085206
	global_atomic_add_f32 v6, v86, s[8:9] offset:264           // 00000000C2F8: DD348108 00085606
	s_mov_b64 exec, s[36:37]                                   // 00000000C300: BEFE0124
	v_mov_b32_e32 v6, v59                                      // 00000000C304: 7E0C033B
	s_mov_b64 s[60:61], 0                                      // 00000000C308: BEBC0180
	v_readlane_b32 s82, v3, 6                                  // 00000000C30C: D2890052 00010D03
	s_and_b32 s82, s82, 0xffffff                               // 00000000C314: 8652FF52 00FFFFFF
	s_cmp_lt_u32 s82, s66                                      // 00000000C31C: BF0A4252
	s_cselect_b32 s20, s36, s60                                // 00000000C320: 85143C24
	v_readlane_b32 s82, v3, 7                                  // 00000000C324: D2890052 00010F03
	s_and_b32 s82, s82, 0xffffff                               // 00000000C32C: 8652FF52 00FFFFFF
	s_cmp_lt_u32 s82, s66                                      // 00000000C334: BF0A4252
	s_cselect_b32 s21, s36, s60                                // 00000000C338: 85153C24
	s_mov_b64 exec, s[20:21]                                   // 00000000C33C: BEFE0114
	global_atomic_add_f32 v6, v83, s[8:9] offset:8             // 00000000C340: DD348008 00085306
	global_atomic_add_f32 v6, v87, s[8:9] offset:264           // 00000000C348: DD348108 00085706
	s_mov_b64 exec, s[36:37]                                   // 00000000C350: BEFE0124
	v_mov_b32_e32 v6, v60                                      // 00000000C354: 7E0C033C
	s_mov_b64 s[60:61], 0                                      // 00000000C358: BEBC0180
	v_readlane_b32 s82, v3, 8                                  // 00000000C35C: D2890052 00011103
	s_and_b32 s82, s82, 0xffffff                               // 00000000C364: 8652FF52 00FFFFFF
	s_cmp_lt_u32 s82, s66                                      // 00000000C36C: BF0A4252
	s_cselect_b32 s20, s36, s60                                // 00000000C370: 85143C24
	v_readlane_b32 s82, v3, 9                                  // 00000000C374: D2890052 00011303
	s_and_b32 s82, s82, 0xffffff                               // 00000000C37C: 8652FF52 00FFFFFF
	s_cmp_lt_u32 s82, s66                                      // 00000000C384: BF0A4252
	s_cselect_b32 s21, s36, s60                                // 00000000C388: 85153C24
	s_mov_b64 exec, s[20:21]                                   // 00000000C38C: BEFE0114
	global_atomic_add_f32 v6, v90, s[8:9] offset:8             // 00000000C390: DD348008 00085A06
	global_atomic_add_f32 v6, v94, s[8:9] offset:264           // 00000000C398: DD348108 00085E06
	s_mov_b64 exec, s[36:37]                                   // 00000000C3A0: BEFE0124
	v_mov_b32_e32 v6, v61                                      // 00000000C3A4: 7E0C033D
	s_mov_b64 s[60:61], 0                                      // 00000000C3A8: BEBC0180
	v_readlane_b32 s82, v3, 10                                 // 00000000C3AC: D2890052 00011503
	s_and_b32 s82, s82, 0xffffff                               // 00000000C3B4: 8652FF52 00FFFFFF
	s_cmp_lt_u32 s82, s66                                      // 00000000C3BC: BF0A4252
	s_cselect_b32 s20, s36, s60                                // 00000000C3C0: 85143C24
	v_readlane_b32 s82, v3, 11                                 // 00000000C3C4: D2890052 00011703
	s_and_b32 s82, s82, 0xffffff                               // 00000000C3CC: 8652FF52 00FFFFFF
	s_cmp_lt_u32 s82, s66                                      // 00000000C3D4: BF0A4252
	s_cselect_b32 s21, s36, s60                                // 00000000C3D8: 85153C24
	s_mov_b64 exec, s[20:21]                                   // 00000000C3DC: BEFE0114
	global_atomic_add_f32 v6, v91, s[8:9] offset:8             // 00000000C3E0: DD348008 00085B06
	global_atomic_add_f32 v6, v95, s[8:9] offset:264           // 00000000C3E8: DD348108 00085F06
	s_mov_b64 exec, s[36:37]                                   // 00000000C3F0: BEFE0124
	v_mov_b32_e32 v6, v62                                      // 00000000C3F4: 7E0C033E
	s_mov_b64 s[60:61], 0                                      // 00000000C3F8: BEBC0180
	v_readlane_b32 s82, v3, 12                                 // 00000000C3FC: D2890052 00011903
	s_and_b32 s82, s82, 0xffffff                               // 00000000C404: 8652FF52 00FFFFFF
	s_cmp_lt_u32 s82, s66                                      // 00000000C40C: BF0A4252
	s_cselect_b32 s20, s36, s60                                // 00000000C410: 85143C24
	v_readlane_b32 s82, v3, 13                                 // 00000000C414: D2890052 00011B03
	s_and_b32 s82, s82, 0xffffff                               // 00000000C41C: 8652FF52 00FFFFFF
	s_cmp_lt_u32 s82, s66                                      // 00000000C424: BF0A4252
	s_cselect_b32 s21, s36, s60                                // 00000000C428: 85153C24
	s_mov_b64 exec, s[20:21]                                   // 00000000C42C: BEFE0114
	global_atomic_add_f32 v6, v98, s[8:9] offset:8             // 00000000C430: DD348008 00086206
	global_atomic_add_f32 v6, v102, s[8:9] offset:264          // 00000000C438: DD348108 00086606
	s_mov_b64 exec, s[36:37]                                   // 00000000C440: BEFE0124
	v_mov_b32_e32 v6, v63                                      // 00000000C444: 7E0C033F
	s_mov_b64 s[60:61], 0                                      // 00000000C448: BEBC0180
	v_readlane_b32 s82, v3, 14                                 // 00000000C44C: D2890052 00011D03
	s_and_b32 s82, s82, 0xffffff                               // 00000000C454: 8652FF52 00FFFFFF
	s_cmp_lt_u32 s82, s66                                      // 00000000C45C: BF0A4252
	s_cselect_b32 s20, s36, s60                                // 00000000C460: 85143C24
	v_readlane_b32 s82, v3, 15                                 // 00000000C464: D2890052 00011F03
	s_and_b32 s82, s82, 0xffffff                               // 00000000C46C: 8652FF52 00FFFFFF
	s_cmp_lt_u32 s82, s66                                      // 00000000C474: BF0A4252
	s_cselect_b32 s21, s36, s60                                // 00000000C478: 85153C24
	s_mov_b64 exec, s[20:21]                                   // 00000000C47C: BEFE0114
	global_atomic_add_f32 v6, v99, s[8:9] offset:8             // 00000000C480: DD348008 00086306
	global_atomic_add_f32 v6, v103, s[8:9] offset:264          // 00000000C488: DD348108 00086706
	s_mov_b64 exec, s[36:37]                                   // 00000000C490: BEFE0124
	v_mov_b32_e32 v6, v64                                      // 00000000C494: 7E0C0340
	s_mov_b64 s[60:61], 0                                      // 00000000C498: BEBC0180
	v_readlane_b32 s82, v3, 16                                 // 00000000C49C: D2890052 00012103
	s_and_b32 s82, s82, 0xffffff                               // 00000000C4A4: 8652FF52 00FFFFFF
	s_cmp_lt_u32 s82, s66                                      // 00000000C4AC: BF0A4252
	s_cselect_b32 s20, s36, s60                                // 00000000C4B0: 85143C24
	v_readlane_b32 s82, v3, 17                                 // 00000000C4B4: D2890052 00012303
	s_and_b32 s82, s82, 0xffffff                               // 00000000C4BC: 8652FF52 00FFFFFF
	s_cmp_lt_u32 s82, s66                                      // 00000000C4C4: BF0A4252
	s_cselect_b32 s21, s36, s60                                // 00000000C4C8: 85153C24
	s_mov_b64 exec, s[20:21]                                   // 00000000C4CC: BEFE0114
	global_atomic_add_f32 v6, v106, s[8:9] offset:8            // 00000000C4D0: DD348008 00086A06
	global_atomic_add_f32 v6, v110, s[8:9] offset:264          // 00000000C4D8: DD348108 00086E06
	s_mov_b64 exec, s[36:37]                                   // 00000000C4E0: BEFE0124
	v_mov_b32_e32 v6, v65                                      // 00000000C4E4: 7E0C0341
	s_mov_b64 s[60:61], 0                                      // 00000000C4E8: BEBC0180
	v_readlane_b32 s82, v3, 18                                 // 00000000C4EC: D2890052 00012503
	s_and_b32 s82, s82, 0xffffff                               // 00000000C4F4: 8652FF52 00FFFFFF
	s_cmp_lt_u32 s82, s66                                      // 00000000C4FC: BF0A4252
	s_cselect_b32 s20, s36, s60                                // 00000000C500: 85143C24
	v_readlane_b32 s82, v3, 19                                 // 00000000C504: D2890052 00012703
	s_and_b32 s82, s82, 0xffffff                               // 00000000C50C: 8652FF52 00FFFFFF
	s_cmp_lt_u32 s82, s66                                      // 00000000C514: BF0A4252
	s_cselect_b32 s21, s36, s60                                // 00000000C518: 85153C24
	s_mov_b64 exec, s[20:21]                                   // 00000000C51C: BEFE0114
	global_atomic_add_f32 v6, v107, s[8:9] offset:8            // 00000000C520: DD348008 00086B06
	global_atomic_add_f32 v6, v111, s[8:9] offset:264          // 00000000C528: DD348108 00086F06
	s_mov_b64 exec, s[36:37]                                   // 00000000C530: BEFE0124
	v_mov_b32_e32 v6, v66                                      // 00000000C534: 7E0C0342
	s_mov_b64 s[60:61], 0                                      // 00000000C538: BEBC0180
	v_readlane_b32 s82, v3, 20                                 // 00000000C53C: D2890052 00012903
	s_and_b32 s82, s82, 0xffffff                               // 00000000C544: 8652FF52 00FFFFFF
	s_cmp_lt_u32 s82, s66                                      // 00000000C54C: BF0A4252
	s_cselect_b32 s20, s36, s60                                // 00000000C550: 85143C24
	v_readlane_b32 s82, v3, 21                                 // 00000000C554: D2890052 00012B03
	s_and_b32 s82, s82, 0xffffff                               // 00000000C55C: 8652FF52 00FFFFFF
	s_cmp_lt_u32 s82, s66                                      // 00000000C564: BF0A4252
	s_cselect_b32 s21, s36, s60                                // 00000000C568: 85153C24
	s_mov_b64 exec, s[20:21]                                   // 00000000C56C: BEFE0114
	global_atomic_add_f32 v6, v114, s[8:9] offset:8            // 00000000C570: DD348008 00087206
	global_atomic_add_f32 v6, v118, s[8:9] offset:264          // 00000000C578: DD348108 00087606
	s_mov_b64 exec, s[36:37]                                   // 00000000C580: BEFE0124
	v_mov_b32_e32 v6, v67                                      // 00000000C584: 7E0C0343
	s_mov_b64 s[60:61], 0                                      // 00000000C588: BEBC0180
	v_readlane_b32 s82, v3, 22                                 // 00000000C58C: D2890052 00012D03
	s_and_b32 s82, s82, 0xffffff                               // 00000000C594: 8652FF52 00FFFFFF
	s_cmp_lt_u32 s82, s66                                      // 00000000C59C: BF0A4252
	s_cselect_b32 s20, s36, s60                                // 00000000C5A0: 85143C24
	v_readlane_b32 s82, v3, 23                                 // 00000000C5A4: D2890052 00012F03
	s_and_b32 s82, s82, 0xffffff                               // 00000000C5AC: 8652FF52 00FFFFFF
	s_cmp_lt_u32 s82, s66                                      // 00000000C5B4: BF0A4252
	s_cselect_b32 s21, s36, s60                                // 00000000C5B8: 85153C24
	s_mov_b64 exec, s[20:21]                                   // 00000000C5BC: BEFE0114
	global_atomic_add_f32 v6, v115, s[8:9] offset:8            // 00000000C5C0: DD348008 00087306
	global_atomic_add_f32 v6, v119, s[8:9] offset:264          // 00000000C5C8: DD348108 00087706
	s_mov_b64 exec, s[36:37]                                   // 00000000C5D0: BEFE0124
	v_mov_b32_e32 v6, v68                                      // 00000000C5D4: 7E0C0344
	s_mov_b64 s[60:61], 0                                      // 00000000C5D8: BEBC0180
	v_readlane_b32 s82, v3, 24                                 // 00000000C5DC: D2890052 00013103
	s_and_b32 s82, s82, 0xffffff                               // 00000000C5E4: 8652FF52 00FFFFFF
	s_cmp_lt_u32 s82, s66                                      // 00000000C5EC: BF0A4252
	s_cselect_b32 s20, s36, s60                                // 00000000C5F0: 85143C24
	v_readlane_b32 s82, v3, 25                                 // 00000000C5F4: D2890052 00013303
	s_and_b32 s82, s82, 0xffffff                               // 00000000C5FC: 8652FF52 00FFFFFF
	s_cmp_lt_u32 s82, s66                                      // 00000000C604: BF0A4252
	s_cselect_b32 s21, s36, s60                                // 00000000C608: 85153C24
	s_mov_b64 exec, s[20:21]                                   // 00000000C60C: BEFE0114
	global_atomic_add_f32 v6, v122, s[8:9] offset:8            // 00000000C610: DD348008 00087A06
	global_atomic_add_f32 v6, v126, s[8:9] offset:264          // 00000000C618: DD348108 00087E06
	s_mov_b64 exec, s[36:37]                                   // 00000000C620: BEFE0124
	v_mov_b32_e32 v6, v69                                      // 00000000C624: 7E0C0345
	s_mov_b64 s[60:61], 0                                      // 00000000C628: BEBC0180
	v_readlane_b32 s82, v3, 26                                 // 00000000C62C: D2890052 00013503
	s_and_b32 s82, s82, 0xffffff                               // 00000000C634: 8652FF52 00FFFFFF
	s_cmp_lt_u32 s82, s66                                      // 00000000C63C: BF0A4252
	s_cselect_b32 s20, s36, s60                                // 00000000C640: 85143C24
	v_readlane_b32 s82, v3, 27                                 // 00000000C644: D2890052 00013703
	s_and_b32 s82, s82, 0xffffff                               // 00000000C64C: 8652FF52 00FFFFFF
	s_cmp_lt_u32 s82, s66                                      // 00000000C654: BF0A4252
	s_cselect_b32 s21, s36, s60                                // 00000000C658: 85153C24
	s_mov_b64 exec, s[20:21]                                   // 00000000C65C: BEFE0114
	global_atomic_add_f32 v6, v123, s[8:9] offset:8            // 00000000C660: DD348008 00087B06
	global_atomic_add_f32 v6, v127, s[8:9] offset:264          // 00000000C668: DD348108 00087F06
	s_mov_b64 exec, s[36:37]                                   // 00000000C670: BEFE0124
	ds_write_b64 v20, v[128:129]                               // 00000000C674: D89A0000 00008014
	ds_write_b64 v20, v[132:133] offset:4352                   // 00000000C67C: D89A1100 00008414
	ds_write_b64 v20, v[136:137] offset:8704                   // 00000000C684: D89A2200 00008814
	ds_write_b64 v20, v[140:141] offset:13056                  // 00000000C68C: D89A3300 00008C14
	ds_write_b64 v20, v[144:145] offset:17408                  // 00000000C694: D89A4400 00009014
	ds_write_b64 v20, v[148:149] offset:21760                  // 00000000C69C: D89A5500 00009414
	ds_write_b64 v20, v[152:153] offset:26112                  // 00000000C6A4: D89A6600 00009814
	ds_write_b64 v20, v[156:157] offset:2176                   // 00000000C6AC: D89A0880 00009C14
	ds_write_b64 v20, v[160:161] offset:6528                   // 00000000C6B4: D89A1980 0000A014
	ds_write_b64 v20, v[164:165] offset:10880                  // 00000000C6BC: D89A2A80 0000A414
	ds_write_b64 v20, v[168:169] offset:15232                  // 00000000C6C4: D89A3B80 0000A814
	ds_write_b64 v20, v[172:173] offset:19584                  // 00000000C6CC: D89A4C80 0000AC14
	ds_write_b64 v20, v[176:177] offset:23936                  // 00000000C6D4: D89A5D80 0000B014
	ds_write_b64 v20, v[180:181] offset:28288                  // 00000000C6DC: D89A6E80 0000B414
	s_waitcnt lgkmcnt(0)                                       // 00000000C6E4: BF8CC07F
	s_barrier                                                  // 00000000C6E8: BF8A0000
	ds_read_b32 v128, v21                                      // 00000000C6EC: D86C0000 80000015
	ds_read_b32 v129, v21 offset:64                            // 00000000C6F4: D86C0040 81000015
	ds_read_b32 v132, v21 offset:2176                          // 00000000C6FC: D86C0880 84000015
	ds_read_b32 v133, v21 offset:2240                          // 00000000C704: D86C08C0 85000015
	ds_read_b32 v136, v21 offset:4352                          // 00000000C70C: D86C1100 88000015
	ds_read_b32 v137, v21 offset:4416                          // 00000000C714: D86C1140 89000015
	ds_read_b32 v140, v21 offset:6528                          // 00000000C71C: D86C1980 8C000015
	ds_read_b32 v141, v21 offset:6592                          // 00000000C724: D86C19C0 8D000015
	ds_read_b32 v144, v21 offset:8704                          // 00000000C72C: D86C2200 90000015
	ds_read_b32 v145, v21 offset:8768                          // 00000000C734: D86C2240 91000015
	ds_read_b32 v148, v21 offset:10880                         // 00000000C73C: D86C2A80 94000015
	ds_read_b32 v149, v21 offset:10944                         // 00000000C744: D86C2AC0 95000015
	ds_read_b32 v152, v21 offset:13056                         // 00000000C74C: D86C3300 98000015
	ds_read_b32 v153, v21 offset:13120                         // 00000000C754: D86C3340 99000015
	ds_read_b32 v156, v21 offset:15232                         // 00000000C75C: D86C3B80 9C000015
	ds_read_b32 v157, v21 offset:15296                         // 00000000C764: D86C3BC0 9D000015
	ds_read_b32 v160, v21 offset:17408                         // 00000000C76C: D86C4400 A0000015
	ds_read_b32 v161, v21 offset:17472                         // 00000000C774: D86C4440 A1000015
	ds_read_b32 v164, v21 offset:19584                         // 00000000C77C: D86C4C80 A4000015
	ds_read_b32 v165, v21 offset:19648                         // 00000000C784: D86C4CC0 A5000015
	ds_read_b32 v168, v21 offset:21760                         // 00000000C78C: D86C5500 A8000015
	ds_read_b32 v169, v21 offset:21824                         // 00000000C794: D86C5540 A9000015
	ds_read_b32 v172, v21 offset:23936                         // 00000000C79C: D86C5D80 AC000015
	ds_read_b32 v173, v21 offset:24000                         // 00000000C7A4: D86C5DC0 AD000015
	ds_read_b32 v176, v21 offset:26112                         // 00000000C7AC: D86C6600 B0000015
	ds_read_b32 v177, v21 offset:26176                         // 00000000C7B4: D86C6640 B1000015
	ds_read_b32 v180, v21 offset:28288                         // 00000000C7BC: D86C6E80 B4000015
	ds_read_b32 v181, v21 offset:28352                         // 00000000C7C4: D86C6EC0 B5000015
	s_mul_i32 s60, s65, 4                                      // 00000000C7CC: 923C8441
	s_add_u32 s8, s60, s8                                      // 00000000C7D0: 8008083C
	s_addc_u32 s9, 0, s9                                       // 00000000C7D4: 82090980
	s_waitcnt lgkmcnt(0)                                       // 00000000C7D8: BF8CC07F
	v_mov_b32_e32 v7, 0                                        // 00000000C7DC: 7E0E0280
	s_mov_b64 exec, s[36:37]                                   // 00000000C7E0: BEFE0124
	v_mov_b32_e32 v6, v56                                      // 00000000C7E4: 7E0C0338
	s_mov_b64 s[60:61], 0                                      // 00000000C7E8: BEBC0180
	v_readlane_b32 s82, v3, 0                                  // 00000000C7EC: D2890052 00010103
	s_and_b32 s82, s82, 0xffffff                               // 00000000C7F4: 8652FF52 00FFFFFF
	s_cmp_lt_u32 s82, s66                                      // 00000000C7FC: BF0A4252
	s_cselect_b32 s20, s36, s60                                // 00000000C800: 85143C24
	v_readlane_b32 s82, v3, 1                                  // 00000000C804: D2890052 00010303
	s_and_b32 s82, s82, 0xffffff                               // 00000000C80C: 8652FF52 00FFFFFF
	s_cmp_lt_u32 s82, s66                                      // 00000000C814: BF0A4252
	s_cselect_b32 s21, s36, s60                                // 00000000C818: 85153C24
	s_mov_b64 exec, s[20:21]                                   // 00000000C81C: BEFE0114
	global_atomic_add_f32 v6, v128, s[8:9]                     // 00000000C820: DD348000 00088006
	global_atomic_add_f32 v6, v132, s[8:9] offset:256          // 00000000C828: DD348100 00088406
	s_mov_b64 exec, s[36:37]                                   // 00000000C830: BEFE0124
	v_mov_b32_e32 v6, v57                                      // 00000000C834: 7E0C0339
	s_mov_b64 s[60:61], 0                                      // 00000000C838: BEBC0180
	v_readlane_b32 s82, v3, 2                                  // 00000000C83C: D2890052 00010503
	s_and_b32 s82, s82, 0xffffff                               // 00000000C844: 8652FF52 00FFFFFF
	s_cmp_lt_u32 s82, s66                                      // 00000000C84C: BF0A4252
	s_cselect_b32 s20, s36, s60                                // 00000000C850: 85143C24
	v_readlane_b32 s82, v3, 3                                  // 00000000C854: D2890052 00010703
	s_and_b32 s82, s82, 0xffffff                               // 00000000C85C: 8652FF52 00FFFFFF
	s_cmp_lt_u32 s82, s66                                      // 00000000C864: BF0A4252
	s_cselect_b32 s21, s36, s60                                // 00000000C868: 85153C24
	s_mov_b64 exec, s[20:21]                                   // 00000000C86C: BEFE0114
	global_atomic_add_f32 v6, v129, s[8:9]                     // 00000000C870: DD348000 00088106
	global_atomic_add_f32 v6, v133, s[8:9] offset:256          // 00000000C878: DD348100 00088506
	s_mov_b64 exec, s[36:37]                                   // 00000000C880: BEFE0124
	v_mov_b32_e32 v6, v58                                      // 00000000C884: 7E0C033A
	s_mov_b64 s[60:61], 0                                      // 00000000C888: BEBC0180
	v_readlane_b32 s82, v3, 4                                  // 00000000C88C: D2890052 00010903
	s_and_b32 s82, s82, 0xffffff                               // 00000000C894: 8652FF52 00FFFFFF
	s_cmp_lt_u32 s82, s66                                      // 00000000C89C: BF0A4252
	s_cselect_b32 s20, s36, s60                                // 00000000C8A0: 85143C24
	v_readlane_b32 s82, v3, 5                                  // 00000000C8A4: D2890052 00010B03
	s_and_b32 s82, s82, 0xffffff                               // 00000000C8AC: 8652FF52 00FFFFFF
	s_cmp_lt_u32 s82, s66                                      // 00000000C8B4: BF0A4252
	s_cselect_b32 s21, s36, s60                                // 00000000C8B8: 85153C24
	s_mov_b64 exec, s[20:21]                                   // 00000000C8BC: BEFE0114
	global_atomic_add_f32 v6, v136, s[8:9]                     // 00000000C8C0: DD348000 00088806
	global_atomic_add_f32 v6, v140, s[8:9] offset:256          // 00000000C8C8: DD348100 00088C06
	s_mov_b64 exec, s[36:37]                                   // 00000000C8D0: BEFE0124
	v_mov_b32_e32 v6, v59                                      // 00000000C8D4: 7E0C033B
	s_mov_b64 s[60:61], 0                                      // 00000000C8D8: BEBC0180
	v_readlane_b32 s82, v3, 6                                  // 00000000C8DC: D2890052 00010D03
	s_and_b32 s82, s82, 0xffffff                               // 00000000C8E4: 8652FF52 00FFFFFF
	s_cmp_lt_u32 s82, s66                                      // 00000000C8EC: BF0A4252
	s_cselect_b32 s20, s36, s60                                // 00000000C8F0: 85143C24
	v_readlane_b32 s82, v3, 7                                  // 00000000C8F4: D2890052 00010F03
	s_and_b32 s82, s82, 0xffffff                               // 00000000C8FC: 8652FF52 00FFFFFF
	s_cmp_lt_u32 s82, s66                                      // 00000000C904: BF0A4252
	s_cselect_b32 s21, s36, s60                                // 00000000C908: 85153C24
	s_mov_b64 exec, s[20:21]                                   // 00000000C90C: BEFE0114
	global_atomic_add_f32 v6, v137, s[8:9]                     // 00000000C910: DD348000 00088906
	global_atomic_add_f32 v6, v141, s[8:9] offset:256          // 00000000C918: DD348100 00088D06
	s_mov_b64 exec, s[36:37]                                   // 00000000C920: BEFE0124
	v_mov_b32_e32 v6, v60                                      // 00000000C924: 7E0C033C
	s_mov_b64 s[60:61], 0                                      // 00000000C928: BEBC0180
	v_readlane_b32 s82, v3, 8                                  // 00000000C92C: D2890052 00011103
	s_and_b32 s82, s82, 0xffffff                               // 00000000C934: 8652FF52 00FFFFFF
	s_cmp_lt_u32 s82, s66                                      // 00000000C93C: BF0A4252
	s_cselect_b32 s20, s36, s60                                // 00000000C940: 85143C24
	v_readlane_b32 s82, v3, 9                                  // 00000000C944: D2890052 00011303
	s_and_b32 s82, s82, 0xffffff                               // 00000000C94C: 8652FF52 00FFFFFF
	s_cmp_lt_u32 s82, s66                                      // 00000000C954: BF0A4252
	s_cselect_b32 s21, s36, s60                                // 00000000C958: 85153C24
	s_mov_b64 exec, s[20:21]                                   // 00000000C95C: BEFE0114
	global_atomic_add_f32 v6, v144, s[8:9]                     // 00000000C960: DD348000 00089006
	global_atomic_add_f32 v6, v148, s[8:9] offset:256          // 00000000C968: DD348100 00089406
	s_mov_b64 exec, s[36:37]                                   // 00000000C970: BEFE0124
	v_mov_b32_e32 v6, v61                                      // 00000000C974: 7E0C033D
	s_mov_b64 s[60:61], 0                                      // 00000000C978: BEBC0180
	v_readlane_b32 s82, v3, 10                                 // 00000000C97C: D2890052 00011503
	s_and_b32 s82, s82, 0xffffff                               // 00000000C984: 8652FF52 00FFFFFF
	s_cmp_lt_u32 s82, s66                                      // 00000000C98C: BF0A4252
	s_cselect_b32 s20, s36, s60                                // 00000000C990: 85143C24
	v_readlane_b32 s82, v3, 11                                 // 00000000C994: D2890052 00011703
	s_and_b32 s82, s82, 0xffffff                               // 00000000C99C: 8652FF52 00FFFFFF
	s_cmp_lt_u32 s82, s66                                      // 00000000C9A4: BF0A4252
	s_cselect_b32 s21, s36, s60                                // 00000000C9A8: 85153C24
	s_mov_b64 exec, s[20:21]                                   // 00000000C9AC: BEFE0114
	global_atomic_add_f32 v6, v145, s[8:9]                     // 00000000C9B0: DD348000 00089106
	global_atomic_add_f32 v6, v149, s[8:9] offset:256          // 00000000C9B8: DD348100 00089506
	s_mov_b64 exec, s[36:37]                                   // 00000000C9C0: BEFE0124
	v_mov_b32_e32 v6, v62                                      // 00000000C9C4: 7E0C033E
	s_mov_b64 s[60:61], 0                                      // 00000000C9C8: BEBC0180
	v_readlane_b32 s82, v3, 12                                 // 00000000C9CC: D2890052 00011903
	s_and_b32 s82, s82, 0xffffff                               // 00000000C9D4: 8652FF52 00FFFFFF
	s_cmp_lt_u32 s82, s66                                      // 00000000C9DC: BF0A4252
	s_cselect_b32 s20, s36, s60                                // 00000000C9E0: 85143C24
	v_readlane_b32 s82, v3, 13                                 // 00000000C9E4: D2890052 00011B03
	s_and_b32 s82, s82, 0xffffff                               // 00000000C9EC: 8652FF52 00FFFFFF
	s_cmp_lt_u32 s82, s66                                      // 00000000C9F4: BF0A4252
	s_cselect_b32 s21, s36, s60                                // 00000000C9F8: 85153C24
	s_mov_b64 exec, s[20:21]                                   // 00000000C9FC: BEFE0114
	global_atomic_add_f32 v6, v152, s[8:9]                     // 00000000CA00: DD348000 00089806
	global_atomic_add_f32 v6, v156, s[8:9] offset:256          // 00000000CA08: DD348100 00089C06
	s_mov_b64 exec, s[36:37]                                   // 00000000CA10: BEFE0124
	v_mov_b32_e32 v6, v63                                      // 00000000CA14: 7E0C033F
	s_mov_b64 s[60:61], 0                                      // 00000000CA18: BEBC0180
	v_readlane_b32 s82, v3, 14                                 // 00000000CA1C: D2890052 00011D03
	s_and_b32 s82, s82, 0xffffff                               // 00000000CA24: 8652FF52 00FFFFFF
	s_cmp_lt_u32 s82, s66                                      // 00000000CA2C: BF0A4252
	s_cselect_b32 s20, s36, s60                                // 00000000CA30: 85143C24
	v_readlane_b32 s82, v3, 15                                 // 00000000CA34: D2890052 00011F03
	s_and_b32 s82, s82, 0xffffff                               // 00000000CA3C: 8652FF52 00FFFFFF
	s_cmp_lt_u32 s82, s66                                      // 00000000CA44: BF0A4252
	s_cselect_b32 s21, s36, s60                                // 00000000CA48: 85153C24
	s_mov_b64 exec, s[20:21]                                   // 00000000CA4C: BEFE0114
	global_atomic_add_f32 v6, v153, s[8:9]                     // 00000000CA50: DD348000 00089906
	global_atomic_add_f32 v6, v157, s[8:9] offset:256          // 00000000CA58: DD348100 00089D06
	s_mov_b64 exec, s[36:37]                                   // 00000000CA60: BEFE0124
	v_mov_b32_e32 v6, v64                                      // 00000000CA64: 7E0C0340
	s_mov_b64 s[60:61], 0                                      // 00000000CA68: BEBC0180
	v_readlane_b32 s82, v3, 16                                 // 00000000CA6C: D2890052 00012103
	s_and_b32 s82, s82, 0xffffff                               // 00000000CA74: 8652FF52 00FFFFFF
	s_cmp_lt_u32 s82, s66                                      // 00000000CA7C: BF0A4252
	s_cselect_b32 s20, s36, s60                                // 00000000CA80: 85143C24
	v_readlane_b32 s82, v3, 17                                 // 00000000CA84: D2890052 00012303
	s_and_b32 s82, s82, 0xffffff                               // 00000000CA8C: 8652FF52 00FFFFFF
	s_cmp_lt_u32 s82, s66                                      // 00000000CA94: BF0A4252
	s_cselect_b32 s21, s36, s60                                // 00000000CA98: 85153C24
	s_mov_b64 exec, s[20:21]                                   // 00000000CA9C: BEFE0114
	global_atomic_add_f32 v6, v160, s[8:9]                     // 00000000CAA0: DD348000 0008A006
	global_atomic_add_f32 v6, v164, s[8:9] offset:256          // 00000000CAA8: DD348100 0008A406
	s_mov_b64 exec, s[36:37]                                   // 00000000CAB0: BEFE0124
	v_mov_b32_e32 v6, v65                                      // 00000000CAB4: 7E0C0341
	s_mov_b64 s[60:61], 0                                      // 00000000CAB8: BEBC0180
	v_readlane_b32 s82, v3, 18                                 // 00000000CABC: D2890052 00012503
	s_and_b32 s82, s82, 0xffffff                               // 00000000CAC4: 8652FF52 00FFFFFF
	s_cmp_lt_u32 s82, s66                                      // 00000000CACC: BF0A4252
	s_cselect_b32 s20, s36, s60                                // 00000000CAD0: 85143C24
	v_readlane_b32 s82, v3, 19                                 // 00000000CAD4: D2890052 00012703
	s_and_b32 s82, s82, 0xffffff                               // 00000000CADC: 8652FF52 00FFFFFF
	s_cmp_lt_u32 s82, s66                                      // 00000000CAE4: BF0A4252
	s_cselect_b32 s21, s36, s60                                // 00000000CAE8: 85153C24
	s_mov_b64 exec, s[20:21]                                   // 00000000CAEC: BEFE0114
	global_atomic_add_f32 v6, v161, s[8:9]                     // 00000000CAF0: DD348000 0008A106
	global_atomic_add_f32 v6, v165, s[8:9] offset:256          // 00000000CAF8: DD348100 0008A506
	s_mov_b64 exec, s[36:37]                                   // 00000000CB00: BEFE0124
	v_mov_b32_e32 v6, v66                                      // 00000000CB04: 7E0C0342
	s_mov_b64 s[60:61], 0                                      // 00000000CB08: BEBC0180
	v_readlane_b32 s82, v3, 20                                 // 00000000CB0C: D2890052 00012903
	s_and_b32 s82, s82, 0xffffff                               // 00000000CB14: 8652FF52 00FFFFFF
	s_cmp_lt_u32 s82, s66                                      // 00000000CB1C: BF0A4252
	s_cselect_b32 s20, s36, s60                                // 00000000CB20: 85143C24
	v_readlane_b32 s82, v3, 21                                 // 00000000CB24: D2890052 00012B03
	s_and_b32 s82, s82, 0xffffff                               // 00000000CB2C: 8652FF52 00FFFFFF
	s_cmp_lt_u32 s82, s66                                      // 00000000CB34: BF0A4252
	s_cselect_b32 s21, s36, s60                                // 00000000CB38: 85153C24
	s_mov_b64 exec, s[20:21]                                   // 00000000CB3C: BEFE0114
	global_atomic_add_f32 v6, v168, s[8:9]                     // 00000000CB40: DD348000 0008A806
	global_atomic_add_f32 v6, v172, s[8:9] offset:256          // 00000000CB48: DD348100 0008AC06
	s_mov_b64 exec, s[36:37]                                   // 00000000CB50: BEFE0124
	v_mov_b32_e32 v6, v67                                      // 00000000CB54: 7E0C0343
	s_mov_b64 s[60:61], 0                                      // 00000000CB58: BEBC0180
	v_readlane_b32 s82, v3, 22                                 // 00000000CB5C: D2890052 00012D03
	s_and_b32 s82, s82, 0xffffff                               // 00000000CB64: 8652FF52 00FFFFFF
	s_cmp_lt_u32 s82, s66                                      // 00000000CB6C: BF0A4252
	s_cselect_b32 s20, s36, s60                                // 00000000CB70: 85143C24
	v_readlane_b32 s82, v3, 23                                 // 00000000CB74: D2890052 00012F03
	s_and_b32 s82, s82, 0xffffff                               // 00000000CB7C: 8652FF52 00FFFFFF
	s_cmp_lt_u32 s82, s66                                      // 00000000CB84: BF0A4252
	s_cselect_b32 s21, s36, s60                                // 00000000CB88: 85153C24
	s_mov_b64 exec, s[20:21]                                   // 00000000CB8C: BEFE0114
	global_atomic_add_f32 v6, v169, s[8:9]                     // 00000000CB90: DD348000 0008A906
	global_atomic_add_f32 v6, v173, s[8:9] offset:256          // 00000000CB98: DD348100 0008AD06
	s_mov_b64 exec, s[36:37]                                   // 00000000CBA0: BEFE0124
	v_mov_b32_e32 v6, v68                                      // 00000000CBA4: 7E0C0344
	s_mov_b64 s[60:61], 0                                      // 00000000CBA8: BEBC0180
	v_readlane_b32 s82, v3, 24                                 // 00000000CBAC: D2890052 00013103
	s_and_b32 s82, s82, 0xffffff                               // 00000000CBB4: 8652FF52 00FFFFFF
	s_cmp_lt_u32 s82, s66                                      // 00000000CBBC: BF0A4252
	s_cselect_b32 s20, s36, s60                                // 00000000CBC0: 85143C24
	v_readlane_b32 s82, v3, 25                                 // 00000000CBC4: D2890052 00013303
	s_and_b32 s82, s82, 0xffffff                               // 00000000CBCC: 8652FF52 00FFFFFF
	s_cmp_lt_u32 s82, s66                                      // 00000000CBD4: BF0A4252
	s_cselect_b32 s21, s36, s60                                // 00000000CBD8: 85153C24
	s_mov_b64 exec, s[20:21]                                   // 00000000CBDC: BEFE0114
	global_atomic_add_f32 v6, v176, s[8:9]                     // 00000000CBE0: DD348000 0008B006
	global_atomic_add_f32 v6, v180, s[8:9] offset:256          // 00000000CBE8: DD348100 0008B406
	s_mov_b64 exec, s[36:37]                                   // 00000000CBF0: BEFE0124
	v_mov_b32_e32 v6, v69                                      // 00000000CBF4: 7E0C0345
	s_mov_b64 s[60:61], 0                                      // 00000000CBF8: BEBC0180
	v_readlane_b32 s82, v3, 26                                 // 00000000CBFC: D2890052 00013503
	s_and_b32 s82, s82, 0xffffff                               // 00000000CC04: 8652FF52 00FFFFFF
	s_cmp_lt_u32 s82, s66                                      // 00000000CC0C: BF0A4252
	s_cselect_b32 s20, s36, s60                                // 00000000CC10: 85143C24
	v_readlane_b32 s82, v3, 27                                 // 00000000CC14: D2890052 00013703
	s_and_b32 s82, s82, 0xffffff                               // 00000000CC1C: 8652FF52 00FFFFFF
	s_cmp_lt_u32 s82, s66                                      // 00000000CC24: BF0A4252
	s_cselect_b32 s21, s36, s60                                // 00000000CC28: 85153C24
	s_mov_b64 exec, s[20:21]                                   // 00000000CC2C: BEFE0114
	global_atomic_add_f32 v6, v177, s[8:9]                     // 00000000CC30: DD348000 0008B106
	global_atomic_add_f32 v6, v181, s[8:9] offset:256          // 00000000CC38: DD348100 0008B506
	s_mov_b64 exec, s[36:37]                                   // 00000000CC40: BEFE0124
	ds_write_b64 v20, v[130:131]                               // 00000000CC44: D89A0000 00008214
	ds_write_b64 v20, v[134:135] offset:4352                   // 00000000CC4C: D89A1100 00008614
	ds_write_b64 v20, v[138:139] offset:8704                   // 00000000CC54: D89A2200 00008A14
	ds_write_b64 v20, v[142:143] offset:13056                  // 00000000CC5C: D89A3300 00008E14
	ds_write_b64 v20, v[146:147] offset:17408                  // 00000000CC64: D89A4400 00009214
	ds_write_b64 v20, v[150:151] offset:21760                  // 00000000CC6C: D89A5500 00009614
	ds_write_b64 v20, v[154:155] offset:26112                  // 00000000CC74: D89A6600 00009A14
	ds_write_b64 v20, v[158:159] offset:2176                   // 00000000CC7C: D89A0880 00009E14
	ds_write_b64 v20, v[162:163] offset:6528                   // 00000000CC84: D89A1980 0000A214
	ds_write_b64 v20, v[166:167] offset:10880                  // 00000000CC8C: D89A2A80 0000A614
	ds_write_b64 v20, v[170:171] offset:15232                  // 00000000CC94: D89A3B80 0000AA14
	ds_write_b64 v20, v[174:175] offset:19584                  // 00000000CC9C: D89A4C80 0000AE14
	ds_write_b64 v20, v[178:179] offset:23936                  // 00000000CCA4: D89A5D80 0000B214
	ds_write_b64 v20, v[182:183] offset:28288                  // 00000000CCAC: D89A6E80 0000B614
	s_waitcnt lgkmcnt(0)                                       // 00000000CCB4: BF8CC07F
	s_barrier                                                  // 00000000CCB8: BF8A0000
	ds_read_b32 v130, v21                                      // 00000000CCBC: D86C0000 82000015
	ds_read_b32 v131, v21 offset:64                            // 00000000CCC4: D86C0040 83000015
	ds_read_b32 v134, v21 offset:2176                          // 00000000CCCC: D86C0880 86000015
	ds_read_b32 v135, v21 offset:2240                          // 00000000CCD4: D86C08C0 87000015
	ds_read_b32 v138, v21 offset:4352                          // 00000000CCDC: D86C1100 8A000015
	ds_read_b32 v139, v21 offset:4416                          // 00000000CCE4: D86C1140 8B000015
	ds_read_b32 v142, v21 offset:6528                          // 00000000CCEC: D86C1980 8E000015
	ds_read_b32 v143, v21 offset:6592                          // 00000000CCF4: D86C19C0 8F000015
	ds_read_b32 v146, v21 offset:8704                          // 00000000CCFC: D86C2200 92000015
	ds_read_b32 v147, v21 offset:8768                          // 00000000CD04: D86C2240 93000015
	ds_read_b32 v150, v21 offset:10880                         // 00000000CD0C: D86C2A80 96000015
	ds_read_b32 v151, v21 offset:10944                         // 00000000CD14: D86C2AC0 97000015
	ds_read_b32 v154, v21 offset:13056                         // 00000000CD1C: D86C3300 9A000015
	ds_read_b32 v155, v21 offset:13120                         // 00000000CD24: D86C3340 9B000015
	ds_read_b32 v158, v21 offset:15232                         // 00000000CD2C: D86C3B80 9E000015
	ds_read_b32 v159, v21 offset:15296                         // 00000000CD34: D86C3BC0 9F000015
	ds_read_b32 v162, v21 offset:17408                         // 00000000CD3C: D86C4400 A2000015
	ds_read_b32 v163, v21 offset:17472                         // 00000000CD44: D86C4440 A3000015
	ds_read_b32 v166, v21 offset:19584                         // 00000000CD4C: D86C4C80 A6000015
	ds_read_b32 v167, v21 offset:19648                         // 00000000CD54: D86C4CC0 A7000015
	ds_read_b32 v170, v21 offset:21760                         // 00000000CD5C: D86C5500 AA000015
	ds_read_b32 v171, v21 offset:21824                         // 00000000CD64: D86C5540 AB000015
	ds_read_b32 v174, v21 offset:23936                         // 00000000CD6C: D86C5D80 AE000015
	ds_read_b32 v175, v21 offset:24000                         // 00000000CD74: D86C5DC0 AF000015
	ds_read_b32 v178, v21 offset:26112                         // 00000000CD7C: D86C6600 B2000015
	ds_read_b32 v179, v21 offset:26176                         // 00000000CD84: D86C6640 B3000015
	ds_read_b32 v182, v21 offset:28288                         // 00000000CD8C: D86C6E80 B6000015
	ds_read_b32 v183, v21 offset:28352                         // 00000000CD94: D86C6EC0 B7000015
	s_waitcnt lgkmcnt(0)                                       // 00000000CD9C: BF8CC07F
	v_mov_b32_e32 v7, 0                                        // 00000000CDA0: 7E0E0280
	s_mov_b64 exec, s[36:37]                                   // 00000000CDA4: BEFE0124
	v_mov_b32_e32 v6, v56                                      // 00000000CDA8: 7E0C0338
	s_mov_b64 s[60:61], 0                                      // 00000000CDAC: BEBC0180
	v_readlane_b32 s82, v3, 0                                  // 00000000CDB0: D2890052 00010103
	s_and_b32 s82, s82, 0xffffff                               // 00000000CDB8: 8652FF52 00FFFFFF
	s_cmp_lt_u32 s82, s66                                      // 00000000CDC0: BF0A4252
	s_cselect_b32 s20, s36, s60                                // 00000000CDC4: 85143C24
	v_readlane_b32 s82, v3, 1                                  // 00000000CDC8: D2890052 00010303
	s_and_b32 s82, s82, 0xffffff                               // 00000000CDD0: 8652FF52 00FFFFFF
	s_cmp_lt_u32 s82, s66                                      // 00000000CDD8: BF0A4252
	s_cselect_b32 s21, s36, s60                                // 00000000CDDC: 85153C24
	s_mov_b64 exec, s[20:21]                                   // 00000000CDE0: BEFE0114
	global_atomic_add_f32 v6, v130, s[8:9] offset:8            // 00000000CDE4: DD348008 00088206
	global_atomic_add_f32 v6, v134, s[8:9] offset:264          // 00000000CDEC: DD348108 00088606
	s_mov_b64 exec, s[36:37]                                   // 00000000CDF4: BEFE0124
	v_mov_b32_e32 v6, v57                                      // 00000000CDF8: 7E0C0339
	s_mov_b64 s[60:61], 0                                      // 00000000CDFC: BEBC0180
	v_readlane_b32 s82, v3, 2                                  // 00000000CE00: D2890052 00010503
	s_and_b32 s82, s82, 0xffffff                               // 00000000CE08: 8652FF52 00FFFFFF
	s_cmp_lt_u32 s82, s66                                      // 00000000CE10: BF0A4252
	s_cselect_b32 s20, s36, s60                                // 00000000CE14: 85143C24
	v_readlane_b32 s82, v3, 3                                  // 00000000CE18: D2890052 00010703
	s_and_b32 s82, s82, 0xffffff                               // 00000000CE20: 8652FF52 00FFFFFF
	s_cmp_lt_u32 s82, s66                                      // 00000000CE28: BF0A4252
	s_cselect_b32 s21, s36, s60                                // 00000000CE2C: 85153C24
	s_mov_b64 exec, s[20:21]                                   // 00000000CE30: BEFE0114
	global_atomic_add_f32 v6, v131, s[8:9] offset:8            // 00000000CE34: DD348008 00088306
	global_atomic_add_f32 v6, v135, s[8:9] offset:264          // 00000000CE3C: DD348108 00088706
	s_mov_b64 exec, s[36:37]                                   // 00000000CE44: BEFE0124
	v_mov_b32_e32 v6, v58                                      // 00000000CE48: 7E0C033A
	s_mov_b64 s[60:61], 0                                      // 00000000CE4C: BEBC0180
	v_readlane_b32 s82, v3, 4                                  // 00000000CE50: D2890052 00010903
	s_and_b32 s82, s82, 0xffffff                               // 00000000CE58: 8652FF52 00FFFFFF
	s_cmp_lt_u32 s82, s66                                      // 00000000CE60: BF0A4252
	s_cselect_b32 s20, s36, s60                                // 00000000CE64: 85143C24
	v_readlane_b32 s82, v3, 5                                  // 00000000CE68: D2890052 00010B03
	s_and_b32 s82, s82, 0xffffff                               // 00000000CE70: 8652FF52 00FFFFFF
	s_cmp_lt_u32 s82, s66                                      // 00000000CE78: BF0A4252
	s_cselect_b32 s21, s36, s60                                // 00000000CE7C: 85153C24
	s_mov_b64 exec, s[20:21]                                   // 00000000CE80: BEFE0114
	global_atomic_add_f32 v6, v138, s[8:9] offset:8            // 00000000CE84: DD348008 00088A06
	global_atomic_add_f32 v6, v142, s[8:9] offset:264          // 00000000CE8C: DD348108 00088E06
	s_mov_b64 exec, s[36:37]                                   // 00000000CE94: BEFE0124
	v_mov_b32_e32 v6, v59                                      // 00000000CE98: 7E0C033B
	s_mov_b64 s[60:61], 0                                      // 00000000CE9C: BEBC0180
	v_readlane_b32 s82, v3, 6                                  // 00000000CEA0: D2890052 00010D03
	s_and_b32 s82, s82, 0xffffff                               // 00000000CEA8: 8652FF52 00FFFFFF
	s_cmp_lt_u32 s82, s66                                      // 00000000CEB0: BF0A4252
	s_cselect_b32 s20, s36, s60                                // 00000000CEB4: 85143C24
	v_readlane_b32 s82, v3, 7                                  // 00000000CEB8: D2890052 00010F03
	s_and_b32 s82, s82, 0xffffff                               // 00000000CEC0: 8652FF52 00FFFFFF
	s_cmp_lt_u32 s82, s66                                      // 00000000CEC8: BF0A4252
	s_cselect_b32 s21, s36, s60                                // 00000000CECC: 85153C24
	s_mov_b64 exec, s[20:21]                                   // 00000000CED0: BEFE0114
	global_atomic_add_f32 v6, v139, s[8:9] offset:8            // 00000000CED4: DD348008 00088B06
	global_atomic_add_f32 v6, v143, s[8:9] offset:264          // 00000000CEDC: DD348108 00088F06
	s_mov_b64 exec, s[36:37]                                   // 00000000CEE4: BEFE0124
	v_mov_b32_e32 v6, v60                                      // 00000000CEE8: 7E0C033C
	s_mov_b64 s[60:61], 0                                      // 00000000CEEC: BEBC0180
	v_readlane_b32 s82, v3, 8                                  // 00000000CEF0: D2890052 00011103
	s_and_b32 s82, s82, 0xffffff                               // 00000000CEF8: 8652FF52 00FFFFFF
	s_cmp_lt_u32 s82, s66                                      // 00000000CF00: BF0A4252
	s_cselect_b32 s20, s36, s60                                // 00000000CF04: 85143C24
	v_readlane_b32 s82, v3, 9                                  // 00000000CF08: D2890052 00011303
	s_and_b32 s82, s82, 0xffffff                               // 00000000CF10: 8652FF52 00FFFFFF
	s_cmp_lt_u32 s82, s66                                      // 00000000CF18: BF0A4252
	s_cselect_b32 s21, s36, s60                                // 00000000CF1C: 85153C24
	s_mov_b64 exec, s[20:21]                                   // 00000000CF20: BEFE0114
	global_atomic_add_f32 v6, v146, s[8:9] offset:8            // 00000000CF24: DD348008 00089206
	global_atomic_add_f32 v6, v150, s[8:9] offset:264          // 00000000CF2C: DD348108 00089606
	s_mov_b64 exec, s[36:37]                                   // 00000000CF34: BEFE0124
	v_mov_b32_e32 v6, v61                                      // 00000000CF38: 7E0C033D
	s_mov_b64 s[60:61], 0                                      // 00000000CF3C: BEBC0180
	v_readlane_b32 s82, v3, 10                                 // 00000000CF40: D2890052 00011503
	s_and_b32 s82, s82, 0xffffff                               // 00000000CF48: 8652FF52 00FFFFFF
	s_cmp_lt_u32 s82, s66                                      // 00000000CF50: BF0A4252
	s_cselect_b32 s20, s36, s60                                // 00000000CF54: 85143C24
	v_readlane_b32 s82, v3, 11                                 // 00000000CF58: D2890052 00011703
	s_and_b32 s82, s82, 0xffffff                               // 00000000CF60: 8652FF52 00FFFFFF
	s_cmp_lt_u32 s82, s66                                      // 00000000CF68: BF0A4252
	s_cselect_b32 s21, s36, s60                                // 00000000CF6C: 85153C24
	s_mov_b64 exec, s[20:21]                                   // 00000000CF70: BEFE0114
	global_atomic_add_f32 v6, v147, s[8:9] offset:8            // 00000000CF74: DD348008 00089306
	global_atomic_add_f32 v6, v151, s[8:9] offset:264          // 00000000CF7C: DD348108 00089706
	s_mov_b64 exec, s[36:37]                                   // 00000000CF84: BEFE0124
	v_mov_b32_e32 v6, v62                                      // 00000000CF88: 7E0C033E
	s_mov_b64 s[60:61], 0                                      // 00000000CF8C: BEBC0180
	v_readlane_b32 s82, v3, 12                                 // 00000000CF90: D2890052 00011903
	s_and_b32 s82, s82, 0xffffff                               // 00000000CF98: 8652FF52 00FFFFFF
	s_cmp_lt_u32 s82, s66                                      // 00000000CFA0: BF0A4252
	s_cselect_b32 s20, s36, s60                                // 00000000CFA4: 85143C24
	v_readlane_b32 s82, v3, 13                                 // 00000000CFA8: D2890052 00011B03
	s_and_b32 s82, s82, 0xffffff                               // 00000000CFB0: 8652FF52 00FFFFFF
	s_cmp_lt_u32 s82, s66                                      // 00000000CFB8: BF0A4252
	s_cselect_b32 s21, s36, s60                                // 00000000CFBC: 85153C24
	s_mov_b64 exec, s[20:21]                                   // 00000000CFC0: BEFE0114
	global_atomic_add_f32 v6, v154, s[8:9] offset:8            // 00000000CFC4: DD348008 00089A06
	global_atomic_add_f32 v6, v158, s[8:9] offset:264          // 00000000CFCC: DD348108 00089E06
	s_mov_b64 exec, s[36:37]                                   // 00000000CFD4: BEFE0124
	v_mov_b32_e32 v6, v63                                      // 00000000CFD8: 7E0C033F
	s_mov_b64 s[60:61], 0                                      // 00000000CFDC: BEBC0180
	v_readlane_b32 s82, v3, 14                                 // 00000000CFE0: D2890052 00011D03
	s_and_b32 s82, s82, 0xffffff                               // 00000000CFE8: 8652FF52 00FFFFFF
	s_cmp_lt_u32 s82, s66                                      // 00000000CFF0: BF0A4252
	s_cselect_b32 s20, s36, s60                                // 00000000CFF4: 85143C24
	v_readlane_b32 s82, v3, 15                                 // 00000000CFF8: D2890052 00011F03
	s_and_b32 s82, s82, 0xffffff                               // 00000000D000: 8652FF52 00FFFFFF
	s_cmp_lt_u32 s82, s66                                      // 00000000D008: BF0A4252
	s_cselect_b32 s21, s36, s60                                // 00000000D00C: 85153C24
	s_mov_b64 exec, s[20:21]                                   // 00000000D010: BEFE0114
	global_atomic_add_f32 v6, v155, s[8:9] offset:8            // 00000000D014: DD348008 00089B06
	global_atomic_add_f32 v6, v159, s[8:9] offset:264          // 00000000D01C: DD348108 00089F06
	s_mov_b64 exec, s[36:37]                                   // 00000000D024: BEFE0124
	v_mov_b32_e32 v6, v64                                      // 00000000D028: 7E0C0340
	s_mov_b64 s[60:61], 0                                      // 00000000D02C: BEBC0180
	v_readlane_b32 s82, v3, 16                                 // 00000000D030: D2890052 00012103
	s_and_b32 s82, s82, 0xffffff                               // 00000000D038: 8652FF52 00FFFFFF
	s_cmp_lt_u32 s82, s66                                      // 00000000D040: BF0A4252
	s_cselect_b32 s20, s36, s60                                // 00000000D044: 85143C24
	v_readlane_b32 s82, v3, 17                                 // 00000000D048: D2890052 00012303
	s_and_b32 s82, s82, 0xffffff                               // 00000000D050: 8652FF52 00FFFFFF
	s_cmp_lt_u32 s82, s66                                      // 00000000D058: BF0A4252
	s_cselect_b32 s21, s36, s60                                // 00000000D05C: 85153C24
	s_mov_b64 exec, s[20:21]                                   // 00000000D060: BEFE0114
	global_atomic_add_f32 v6, v162, s[8:9] offset:8            // 00000000D064: DD348008 0008A206
	global_atomic_add_f32 v6, v166, s[8:9] offset:264          // 00000000D06C: DD348108 0008A606
	s_mov_b64 exec, s[36:37]                                   // 00000000D074: BEFE0124
	v_mov_b32_e32 v6, v65                                      // 00000000D078: 7E0C0341
	s_mov_b64 s[60:61], 0                                      // 00000000D07C: BEBC0180
	v_readlane_b32 s82, v3, 18                                 // 00000000D080: D2890052 00012503
	s_and_b32 s82, s82, 0xffffff                               // 00000000D088: 8652FF52 00FFFFFF
	s_cmp_lt_u32 s82, s66                                      // 00000000D090: BF0A4252
	s_cselect_b32 s20, s36, s60                                // 00000000D094: 85143C24
	v_readlane_b32 s82, v3, 19                                 // 00000000D098: D2890052 00012703
	s_and_b32 s82, s82, 0xffffff                               // 00000000D0A0: 8652FF52 00FFFFFF
	s_cmp_lt_u32 s82, s66                                      // 00000000D0A8: BF0A4252
	s_cselect_b32 s21, s36, s60                                // 00000000D0AC: 85153C24
	s_mov_b64 exec, s[20:21]                                   // 00000000D0B0: BEFE0114
	global_atomic_add_f32 v6, v163, s[8:9] offset:8            // 00000000D0B4: DD348008 0008A306
	global_atomic_add_f32 v6, v167, s[8:9] offset:264          // 00000000D0BC: DD348108 0008A706
	s_mov_b64 exec, s[36:37]                                   // 00000000D0C4: BEFE0124
	v_mov_b32_e32 v6, v66                                      // 00000000D0C8: 7E0C0342
	s_mov_b64 s[60:61], 0                                      // 00000000D0CC: BEBC0180
	v_readlane_b32 s82, v3, 20                                 // 00000000D0D0: D2890052 00012903
	s_and_b32 s82, s82, 0xffffff                               // 00000000D0D8: 8652FF52 00FFFFFF
	s_cmp_lt_u32 s82, s66                                      // 00000000D0E0: BF0A4252
	s_cselect_b32 s20, s36, s60                                // 00000000D0E4: 85143C24
	v_readlane_b32 s82, v3, 21                                 // 00000000D0E8: D2890052 00012B03
	s_and_b32 s82, s82, 0xffffff                               // 00000000D0F0: 8652FF52 00FFFFFF
	s_cmp_lt_u32 s82, s66                                      // 00000000D0F8: BF0A4252
	s_cselect_b32 s21, s36, s60                                // 00000000D0FC: 85153C24
	s_mov_b64 exec, s[20:21]                                   // 00000000D100: BEFE0114
	global_atomic_add_f32 v6, v170, s[8:9] offset:8            // 00000000D104: DD348008 0008AA06
	global_atomic_add_f32 v6, v174, s[8:9] offset:264          // 00000000D10C: DD348108 0008AE06
	s_mov_b64 exec, s[36:37]                                   // 00000000D114: BEFE0124
	v_mov_b32_e32 v6, v67                                      // 00000000D118: 7E0C0343
	s_mov_b64 s[60:61], 0                                      // 00000000D11C: BEBC0180
	v_readlane_b32 s82, v3, 22                                 // 00000000D120: D2890052 00012D03
	s_and_b32 s82, s82, 0xffffff                               // 00000000D128: 8652FF52 00FFFFFF
	s_cmp_lt_u32 s82, s66                                      // 00000000D130: BF0A4252
	s_cselect_b32 s20, s36, s60                                // 00000000D134: 85143C24
	v_readlane_b32 s82, v3, 23                                 // 00000000D138: D2890052 00012F03
	s_and_b32 s82, s82, 0xffffff                               // 00000000D140: 8652FF52 00FFFFFF
	s_cmp_lt_u32 s82, s66                                      // 00000000D148: BF0A4252
	s_cselect_b32 s21, s36, s60                                // 00000000D14C: 85153C24
	s_mov_b64 exec, s[20:21]                                   // 00000000D150: BEFE0114
	global_atomic_add_f32 v6, v171, s[8:9] offset:8            // 00000000D154: DD348008 0008AB06
	global_atomic_add_f32 v6, v175, s[8:9] offset:264          // 00000000D15C: DD348108 0008AF06
	s_mov_b64 exec, s[36:37]                                   // 00000000D164: BEFE0124
	v_mov_b32_e32 v6, v68                                      // 00000000D168: 7E0C0344
	s_mov_b64 s[60:61], 0                                      // 00000000D16C: BEBC0180
	v_readlane_b32 s82, v3, 24                                 // 00000000D170: D2890052 00013103
	s_and_b32 s82, s82, 0xffffff                               // 00000000D178: 8652FF52 00FFFFFF
	s_cmp_lt_u32 s82, s66                                      // 00000000D180: BF0A4252
	s_cselect_b32 s20, s36, s60                                // 00000000D184: 85143C24
	v_readlane_b32 s82, v3, 25                                 // 00000000D188: D2890052 00013303
	s_and_b32 s82, s82, 0xffffff                               // 00000000D190: 8652FF52 00FFFFFF
	s_cmp_lt_u32 s82, s66                                      // 00000000D198: BF0A4252
	s_cselect_b32 s21, s36, s60                                // 00000000D19C: 85153C24
	s_mov_b64 exec, s[20:21]                                   // 00000000D1A0: BEFE0114
	global_atomic_add_f32 v6, v178, s[8:9] offset:8            // 00000000D1A4: DD348008 0008B206
	global_atomic_add_f32 v6, v182, s[8:9] offset:264          // 00000000D1AC: DD348108 0008B606
	s_mov_b64 exec, s[36:37]                                   // 00000000D1B4: BEFE0124
	v_mov_b32_e32 v6, v69                                      // 00000000D1B8: 7E0C0345
	s_mov_b64 s[60:61], 0                                      // 00000000D1BC: BEBC0180
	v_readlane_b32 s82, v3, 26                                 // 00000000D1C0: D2890052 00013503
	s_and_b32 s82, s82, 0xffffff                               // 00000000D1C8: 8652FF52 00FFFFFF
	s_cmp_lt_u32 s82, s66                                      // 00000000D1D0: BF0A4252
	s_cselect_b32 s20, s36, s60                                // 00000000D1D4: 85143C24
	v_readlane_b32 s82, v3, 27                                 // 00000000D1D8: D2890052 00013703
	s_and_b32 s82, s82, 0xffffff                               // 00000000D1E0: 8652FF52 00FFFFFF
	s_cmp_lt_u32 s82, s66                                      // 00000000D1E8: BF0A4252
	s_cselect_b32 s21, s36, s60                                // 00000000D1EC: 85153C24
	s_mov_b64 exec, s[20:21]                                   // 00000000D1F0: BEFE0114
	global_atomic_add_f32 v6, v179, s[8:9] offset:8            // 00000000D1F4: DD348008 0008B306
	global_atomic_add_f32 v6, v183, s[8:9] offset:264          // 00000000D1FC: DD348108 0008B706
	s_mov_b64 exec, s[36:37]                                   // 00000000D204: BEFE0124
	s_branch label_2A06                                        // 00000000D208: BF820000

000000000000d20c <label_2A06>:
	s_waitcnt vmcnt(0) expcnt(0) lgkmcnt(0)                    // 00000000D20C: BF8C0000
	s_endpgm                                                   // 00000000D210: BF810000
